;; amdgpu-corpus repo=ROCm/rocFFT kind=compiled arch=gfx950 opt=O3
	.text
	.amdgcn_target "amdgcn-amd-amdhsa--gfx950"
	.amdhsa_code_object_version 6
	.protected	bluestein_single_back_len1428_dim1_dp_op_CI_CI ; -- Begin function bluestein_single_back_len1428_dim1_dp_op_CI_CI
	.globl	bluestein_single_back_len1428_dim1_dp_op_CI_CI
	.p2align	8
	.type	bluestein_single_back_len1428_dim1_dp_op_CI_CI,@function
bluestein_single_back_len1428_dim1_dp_op_CI_CI: ; @bluestein_single_back_len1428_dim1_dp_op_CI_CI
; %bb.0:
	s_load_dwordx4 s[4:7], s[0:1], 0x28
	v_mul_u32_u24_e32 v1, 0x227, v0
	v_mov_b32_e32 v219, 0
	v_add_u32_sdwa v220, s2, v1 dst_sel:DWORD dst_unused:UNUSED_PAD src0_sel:DWORD src1_sel:WORD_1
	v_mov_b32_e32 v221, v219
	s_waitcnt lgkmcnt(0)
	v_cmp_gt_u64_e32 vcc, s[4:5], v[220:221]
	s_and_saveexec_b64 s[2:3], vcc
	s_cbranch_execz .LBB0_23
; %bb.1:
	s_load_dwordx2 s[12:13], s[0:1], 0x0
	s_load_dwordx2 s[14:15], s[0:1], 0x38
	s_movk_i32 s2, 0x77
	v_mul_lo_u16_sdwa v1, v1, s2 dst_sel:DWORD dst_unused:UNUSED_PAD src0_sel:WORD_1 src1_sel:DWORD
	v_sub_u16_e32 v218, v0, v1
	s_movk_i32 s2, 0x54
	v_cmp_gt_u16_e64 s[4:5], s2, v218
	v_lshlrev_b32_e32 v232, 4, v218
	s_and_saveexec_b64 s[2:3], s[4:5]
	s_cbranch_execz .LBB0_3
; %bb.2:
	s_load_dwordx2 s[8:9], s[0:1], 0x18
	v_mov_b32_e32 v0, s6
	v_mov_b32_e32 v1, s7
	;; [unrolled: 1-line block ×4, first 2 shown]
	s_waitcnt lgkmcnt(0)
	s_load_dwordx4 s[8:11], s[8:9], 0x0
	v_lshl_add_u64 v[116:117], s[12:13], 0, v[232:233]
	s_waitcnt lgkmcnt(0)
	v_mad_u64_u32 v[2:3], s[6:7], s10, v220, 0
	v_mad_u64_u32 v[4:5], s[6:7], s8, v218, 0
	v_mov_b32_e32 v6, v3
	v_mov_b32_e32 v8, v5
	v_mad_u64_u32 v[6:7], s[6:7], s11, v220, v[6:7]
	v_mov_b32_e32 v3, v6
	v_mad_u64_u32 v[6:7], s[6:7], s9, v218, v[8:9]
	v_mov_b32_e32 v5, v6
	v_lshl_add_u64 v[0:1], v[2:3], 4, v[0:1]
	v_lshl_add_u64 v[8:9], v[4:5], 4, v[0:1]
	v_mad_u64_u32 v[24:25], s[6:7], s8, v30, v[8:9]
	s_movk_i32 s7, 0x1000
	s_mul_i32 s6, s9, 0x540
	v_add_co_u32_e32 v60, vcc, s7, v116
	v_add_u32_e32 v25, s6, v25
	s_movk_i32 s9, 0x2000
	v_addc_co_u32_e32 v61, vcc, 0, v117, vcc
	global_load_dwordx4 v[0:3], v[8:9], off
	global_load_dwordx4 v[4:7], v232, s[12:13]
	v_mad_u64_u32 v[28:29], s[10:11], s8, v30, v[24:25]
	v_add_co_u32_e32 v62, vcc, s9, v116
	v_add_u32_e32 v29, s6, v29
	s_movk_i32 s10, 0x5000
	v_addc_co_u32_e32 v63, vcc, 0, v117, vcc
	global_load_dwordx4 v[8:11], v232, s[12:13] offset:1344
	global_load_dwordx4 v[12:15], v232, s[12:13] offset:2688
	global_load_dwordx4 v[20:23], v[24:25], off
	global_load_dwordx4 v[16:19], v[28:29], off
	v_add_co_u32_e32 v64, vcc, s10, v116
	v_mad_u64_u32 v[28:29], s[10:11], s8, v30, v[28:29]
	v_add_u32_e32 v29, s6, v29
	v_mad_u64_u32 v[68:69], s[10:11], s8, v30, v[28:29]
	global_load_dwordx4 v[24:27], v232, s[12:13] offset:4032
	v_addc_co_u32_e32 v65, vcc, 0, v117, vcc
	v_add_u32_e32 v69, s6, v69
	global_load_dwordx4 v[32:35], v[60:61], off offset:1280
	global_load_dwordx4 v[36:39], v[60:61], off offset:2624
	;; [unrolled: 1-line block ×7, first 2 shown]
	s_nop 0
	global_load_dwordx4 v[60:63], v[28:29], off
	global_load_dwordx4 v[64:67], v[68:69], off
	v_mad_u64_u32 v[28:29], s[10:11], s8, v30, v[68:69]
	v_add_u32_e32 v29, s6, v29
	global_load_dwordx4 v[68:71], v[28:29], off
	v_mad_u64_u32 v[28:29], s[10:11], s8, v30, v[28:29]
	v_add_u32_e32 v29, s6, v29
	;; [unrolled: 3-line block ×6, first 2 shown]
	global_load_dwordx4 v[88:91], v[28:29], off
	s_movk_i32 s7, 0x3000
	v_mad_u64_u32 v[28:29], s[10:11], s8, v30, v[28:29]
	v_add_co_u32_e32 v112, vcc, s7, v116
	v_add_u32_e32 v29, s6, v29
	s_nop 0
	v_addc_co_u32_e32 v113, vcc, 0, v117, vcc
	global_load_dwordx4 v[92:95], v[28:29], off
	global_load_dwordx4 v[96:99], v[112:113], off offset:1152
	global_load_dwordx4 v[100:103], v[112:113], off offset:2496
	v_mad_u64_u32 v[28:29], s[10:11], s8, v30, v[28:29]
	v_add_u32_e32 v29, s6, v29
	s_movk_i32 s7, 0x4000
	global_load_dwordx4 v[104:107], v[28:29], off
	global_load_dwordx4 v[108:111], v[112:113], off offset:3840
	v_mad_u64_u32 v[28:29], s[10:11], s8, v30, v[28:29]
	v_add_co_u32_e32 v132, vcc, s7, v116
	v_add_u32_e32 v29, s6, v29
	s_nop 0
	v_addc_co_u32_e32 v133, vcc, 0, v117, vcc
	global_load_dwordx4 v[112:115], v[28:29], off
	global_load_dwordx4 v[116:119], v[132:133], off offset:1088
	v_mad_u64_u32 v[28:29], s[10:11], s8, v30, v[28:29]
	v_add_u32_e32 v29, s6, v29
	global_load_dwordx4 v[120:123], v[28:29], off
	global_load_dwordx4 v[124:127], v[132:133], off offset:2432
	v_mad_u64_u32 v[136:137], s[10:11], s8, v30, v[28:29]
	v_add_u32_e32 v137, s6, v137
	global_load_dwordx4 v[128:131], v[136:137], off
	s_nop 0
	global_load_dwordx4 v[132:135], v[132:133], off offset:3776
	v_mad_u64_u32 v[30:31], s[8:9], s8, v30, v[136:137]
	v_add_u32_e32 v31, s6, v31
	global_load_dwordx4 v[136:139], v[30:31], off
	s_waitcnt vmcnt(32)
	v_mul_f64 v[28:29], v[2:3], v[6:7]
	v_mul_f64 v[6:7], v[0:1], v[6:7]
	v_fmac_f64_e32 v[28:29], v[0:1], v[4:5]
	v_fma_f64 v[30:31], v[2:3], v[4:5], -v[6:7]
	ds_write_b128 v232, v[28:31]
	s_waitcnt vmcnt(29)
	v_mul_f64 v[0:1], v[22:23], v[10:11]
	v_mul_f64 v[2:3], v[20:21], v[10:11]
	v_fmac_f64_e32 v[0:1], v[20:21], v[8:9]
	v_fma_f64 v[2:3], v[22:23], v[8:9], -v[2:3]
	ds_write_b128 v232, v[0:3] offset:1344
	s_waitcnt vmcnt(28)
	v_mul_f64 v[0:1], v[18:19], v[14:15]
	v_mul_f64 v[2:3], v[16:17], v[14:15]
	v_fmac_f64_e32 v[0:1], v[16:17], v[12:13]
	v_fma_f64 v[2:3], v[18:19], v[12:13], -v[2:3]
	ds_write_b128 v232, v[0:3] offset:2688
	;; [unrolled: 6-line block ×16, first 2 shown]
.LBB0_3:
	s_or_b64 exec, exec, s[2:3]
	s_load_dwordx2 s[2:3], s[0:1], 0x20
	s_load_dwordx2 s[6:7], s[0:1], 0x8
	s_waitcnt lgkmcnt(0)
	s_barrier
	s_waitcnt lgkmcnt(0)
                                        ; implicit-def: $vgpr12_vgpr13
                                        ; implicit-def: $vgpr16_vgpr17
                                        ; implicit-def: $vgpr20_vgpr21
                                        ; implicit-def: $vgpr24_vgpr25
                                        ; implicit-def: $vgpr28_vgpr29
                                        ; implicit-def: $vgpr32_vgpr33
                                        ; implicit-def: $vgpr36_vgpr37
                                        ; implicit-def: $vgpr40_vgpr41
                                        ; implicit-def: $vgpr44_vgpr45
                                        ; implicit-def: $vgpr48_vgpr49
                                        ; implicit-def: $vgpr52_vgpr53
                                        ; implicit-def: $vgpr56_vgpr57
                                        ; implicit-def: $vgpr60_vgpr61
                                        ; implicit-def: $vgpr64_vgpr65
                                        ; implicit-def: $vgpr68_vgpr69
                                        ; implicit-def: $vgpr72_vgpr73
                                        ; implicit-def: $vgpr76_vgpr77
	s_and_saveexec_b64 s[0:1], s[4:5]
	s_cbranch_execz .LBB0_5
; %bb.4:
	ds_read_b128 v[12:15], v232
	ds_read_b128 v[16:19], v232 offset:1344
	ds_read_b128 v[20:23], v232 offset:2688
	;; [unrolled: 1-line block ×16, first 2 shown]
.LBB0_5:
	s_or_b64 exec, exec, s[0:1]
	s_mov_b32 s22, 0x5d8e7cdc
	s_waitcnt lgkmcnt(0)
	v_add_f64 v[104:105], v[18:19], -v[78:79]
	s_mov_b32 s0, 0x370991
	s_mov_b32 s23, 0xbfd71e95
	;; [unrolled: 1-line block ×3, first 2 shown]
	v_add_f64 v[132:133], v[16:17], v[76:77]
	v_add_f64 v[108:109], v[16:17], -v[76:77]
	s_mov_b32 s1, 0x3fedd6d0
	v_mul_f64 v[94:95], v[104:105], s[22:23]
	s_mov_b32 s16, 0x75d4884
	s_mov_b32 s27, 0xbfe58eea
	v_add_f64 v[106:107], v[22:23], -v[74:75]
	v_add_f64 v[134:135], v[18:19], v[78:79]
	v_mul_f64 v[96:97], v[108:109], s[22:23]
	v_fma_f64 v[0:1], s[0:1], v[132:133], v[94:95]
	s_mov_b32 s17, 0x3fe7a5f6
	s_mov_b32 s30, 0x7c9e640b
	v_add_f64 v[142:143], v[20:21], v[72:73]
	v_add_f64 v[110:111], v[20:21], -v[72:73]
	v_mul_f64 v[98:99], v[106:107], s[26:27]
	v_add_f64 v[0:1], v[12:13], v[0:1]
	v_fma_f64 v[2:3], v[134:135], s[0:1], -v[96:97]
	s_mov_b32 s8, 0x2b2883cd
	s_mov_b32 s31, 0xbfeca52d
	v_add_f64 v[144:145], v[22:23], v[74:75]
	v_mul_f64 v[100:101], v[110:111], s[26:27]
	v_fma_f64 v[4:5], s[16:17], v[142:143], v[98:99]
	v_add_f64 v[114:115], v[26:27], -v[70:71]
	v_add_f64 v[2:3], v[14:15], v[2:3]
	s_mov_b32 s9, 0x3fdc86fa
	s_mov_b32 s36, 0xeb564b22
	v_add_f64 v[0:1], v[4:5], v[0:1]
	v_fma_f64 v[4:5], v[144:145], s[16:17], -v[100:101]
	v_add_f64 v[150:151], v[24:25], v[68:69]
	v_add_f64 v[112:113], v[24:25], -v[68:69]
	v_mul_f64 v[102:103], v[114:115], s[30:31]
	s_mov_b32 s18, 0x3259b75e
	s_mov_b32 s37, 0xbfefdd0d
	v_add_f64 v[2:3], v[4:5], v[2:3]
	v_add_f64 v[152:153], v[26:27], v[70:71]
	v_mul_f64 v[230:231], v[112:113], s[30:31]
	v_fma_f64 v[4:5], s[8:9], v[150:151], v[102:103]
	v_add_f64 v[118:119], v[30:31], -v[66:67]
	s_mov_b32 s19, 0x3fb79ee6
	s_mov_b32 s38, 0x923c349f
	v_add_f64 v[0:1], v[4:5], v[0:1]
	v_fma_f64 v[4:5], v[152:153], s[8:9], -v[230:231]
	v_add_f64 v[158:159], v[28:29], v[64:65]
	v_add_f64 v[116:117], v[28:29], -v[64:65]
	v_mul_f64 v[234:235], v[118:119], s[36:37]
	s_mov_b32 s10, 0xc61f0d01
	s_mov_b32 s39, 0xbfeec746
	v_add_f64 v[2:3], v[4:5], v[2:3]
	v_add_f64 v[160:161], v[30:31], v[66:67]
	v_mul_f64 v[236:237], v[116:117], s[36:37]
	v_fma_f64 v[4:5], s[18:19], v[158:159], v[234:235]
	v_add_f64 v[228:229], v[34:35], -v[62:63]
	s_mov_b32 s11, 0xbfd183b1
	v_add_f64 v[0:1], v[4:5], v[0:1]
	v_fma_f64 v[4:5], v[160:161], s[18:19], -v[236:237]
	v_add_f64 v[162:163], v[32:33], v[60:61]
	v_mul_f64 v[238:239], v[228:229], s[38:39]
	v_add_f64 v[222:223], v[32:33], -v[60:61]
	v_add_f64 v[2:3], v[4:5], v[2:3]
	v_fma_f64 v[4:5], s[10:11], v[162:163], v[238:239]
	v_add_f64 v[166:167], v[34:35], v[62:63]
	v_mul_f64 v[240:241], v[222:223], s[38:39]
	s_mov_b32 s40, 0x6c9a05f6
	v_add_f64 v[0:1], v[4:5], v[0:1]
	v_fma_f64 v[4:5], v[166:167], s[10:11], -v[240:241]
	s_mov_b32 s41, 0xbfe9895b
	v_add_f64 v[248:249], v[38:39], -v[58:59]
	v_add_f64 v[2:3], v[4:5], v[2:3]
	s_mov_b32 s20, 0x6ed5f1bb
	v_mul_f64 v[4:5], v[248:249], s[40:41]
	s_mov_b32 s21, 0xbfe348c8
	v_add_f64 v[170:171], v[36:37], v[56:57]
	v_accvgpr_write_b32 a17, v5
	v_accvgpr_write_b32 a16, v4
	v_fma_f64 v[4:5], s[20:21], v[170:171], v[4:5]
	v_add_f64 v[242:243], v[36:37], -v[56:57]
	v_add_f64 v[0:1], v[4:5], v[0:1]
	v_mul_f64 v[4:5], v[242:243], s[40:41]
	v_add_f64 v[172:173], v[38:39], v[58:59]
	v_accvgpr_write_b32 a19, v5
	s_mov_b32 s46, 0x4363dd80
	v_accvgpr_write_b32 a18, v4
	v_fma_f64 v[4:5], v[172:173], s[20:21], -v[4:5]
	s_mov_b32 s47, 0x3fe0d888
	s_mov_b32 s43, 0xbfe0d888
	;; [unrolled: 1-line block ×3, first 2 shown]
	v_add_f64 v[124:125], v[42:43], -v[54:55]
	v_add_f64 v[2:3], v[4:5], v[2:3]
	s_mov_b32 s24, 0x910ea3b9
	v_mul_f64 v[4:5], v[124:125], s[42:43]
	s_mov_b32 s25, 0xbfeb34fa
	v_add_f64 v[176:177], v[40:41], v[52:53]
	v_accvgpr_write_b32 a21, v5
	v_accvgpr_write_b32 a20, v4
	v_fma_f64 v[4:5], s[24:25], v[176:177], v[4:5]
	v_add_f64 v[122:123], v[40:41], -v[52:53]
	v_add_f64 v[0:1], v[4:5], v[0:1]
	v_mul_f64 v[4:5], v[122:123], s[42:43]
	v_add_f64 v[180:181], v[42:43], v[54:55]
	v_accvgpr_write_b32 a23, v5
	s_mov_b32 s44, 0xacd6c6b4
	v_accvgpr_write_b32 a22, v4
	v_fma_f64 v[4:5], v[180:181], s[24:25], -v[4:5]
	s_mov_b32 s45, 0xbfc7851a
	v_add_f64 v[148:149], v[46:47], -v[50:51]
	v_add_f64 v[2:3], v[4:5], v[2:3]
	s_mov_b32 s28, 0x7faef3
	v_mul_f64 v[4:5], v[148:149], s[44:45]
	s_mov_b32 s29, 0xbfef7484
	v_add_f64 v[190:191], v[44:45], v[48:49]
	v_accvgpr_write_b32 a25, v5
	v_accvgpr_write_b32 a24, v4
	v_fma_f64 v[4:5], s[28:29], v[190:191], v[4:5]
	v_add_f64 v[146:147], v[44:45], -v[48:49]
	v_add_f64 v[210:211], v[4:5], v[0:1]
	v_mul_f64 v[0:1], v[146:147], s[44:45]
	v_add_f64 v[198:199], v[46:47], v[50:51]
	v_accvgpr_write_b32 a27, v1
	v_accvgpr_write_b32 a26, v0
	v_fma_f64 v[0:1], v[198:199], s[28:29], -v[0:1]
	v_add_f64 v[212:213], v[0:1], v[2:3]
	v_mul_f64 v[0:1], v[104:105], s[26:27]
	v_accvgpr_write_b32 a29, v1
	v_mul_f64 v[2:3], v[106:107], s[36:37]
	v_accvgpr_write_b32 a28, v0
	v_fma_f64 v[0:1], s[16:17], v[132:133], v[0:1]
	v_accvgpr_write_b32 a31, v3
	v_add_f64 v[0:1], v[12:13], v[0:1]
	v_accvgpr_write_b32 a30, v2
	v_fma_f64 v[2:3], s[18:19], v[142:143], v[2:3]
	v_add_f64 v[0:1], v[2:3], v[0:1]
	v_mul_f64 v[2:3], v[108:109], s[26:27]
	v_accvgpr_write_b32 a37, v3
	v_mul_f64 v[4:5], v[110:111], s[36:37]
	v_accvgpr_write_b32 a36, v2
	v_fma_f64 v[2:3], v[134:135], s[16:17], -v[2:3]
	v_accvgpr_write_b32 a39, v5
	v_add_f64 v[2:3], v[14:15], v[2:3]
	v_accvgpr_write_b32 a38, v4
	v_fma_f64 v[4:5], v[144:145], s[18:19], -v[4:5]
	v_add_f64 v[2:3], v[4:5], v[2:3]
	v_mul_f64 v[4:5], v[114:115], s[40:41]
	v_accvgpr_write_b32 a33, v5
	v_accvgpr_write_b32 a32, v4
	v_fma_f64 v[4:5], s[20:21], v[150:151], v[4:5]
	v_add_f64 v[0:1], v[4:5], v[0:1]
	v_mul_f64 v[4:5], v[112:113], s[40:41]
	v_accvgpr_write_b32 a43, v5
	v_accvgpr_write_b32 a42, v4
	v_fma_f64 v[4:5], v[152:153], s[20:21], -v[4:5]
	v_add_f64 v[2:3], v[4:5], v[2:3]
	v_mul_f64 v[4:5], v[118:119], s[44:45]
	v_accvgpr_write_b32 a35, v5
	v_accvgpr_write_b32 a34, v4
	v_fma_f64 v[4:5], s[28:29], v[158:159], v[4:5]
	v_add_f64 v[0:1], v[4:5], v[0:1]
	v_mul_f64 v[4:5], v[116:117], s[44:45]
	v_accvgpr_write_b32 a47, v5
	;; [unrolled: 10-line block ×3, first 2 shown]
	v_accvgpr_write_b32 a50, v4
	v_fma_f64 v[4:5], v[166:167], s[24:25], -v[4:5]
	s_mov_b32 s49, 0x3feec746
	s_mov_b32 s48, s38
	v_add_f64 v[2:3], v[4:5], v[2:3]
	v_mul_f64 v[4:5], v[248:249], s[48:49]
	v_accvgpr_write_b32 a45, v5
	v_accvgpr_write_b32 a44, v4
	v_fma_f64 v[4:5], s[10:11], v[170:171], v[4:5]
	v_add_f64 v[0:1], v[4:5], v[0:1]
	v_mul_f64 v[4:5], v[242:243], s[48:49]
	v_accvgpr_write_b32 a55, v5
	v_accvgpr_write_b32 a54, v4
	v_fma_f64 v[4:5], v[172:173], s[10:11], -v[4:5]
	s_mov_b32 s51, 0x3feca52d
	s_mov_b32 s50, s30
	v_add_f64 v[2:3], v[4:5], v[2:3]
	v_mul_f64 v[4:5], v[124:125], s[50:51]
	v_accvgpr_write_b32 a49, v5
	v_accvgpr_write_b32 a48, v4
	v_fma_f64 v[4:5], s[8:9], v[176:177], v[4:5]
	v_add_f64 v[0:1], v[4:5], v[0:1]
	v_mul_f64 v[4:5], v[122:123], s[50:51]
	v_accvgpr_write_b32 a57, v5
	;; [unrolled: 12-line block ×3, first 2 shown]
	v_accvgpr_write_b32 a58, v0
	v_fma_f64 v[0:1], v[198:199], s[0:1], -v[0:1]
	v_add_f64 v[216:217], v[0:1], v[2:3]
	v_mul_f64 v[0:1], v[104:105], s[30:31]
	v_accvgpr_write_b32 a61, v1
	v_mul_f64 v[2:3], v[106:107], s[40:41]
	v_accvgpr_write_b32 a60, v0
	v_fma_f64 v[0:1], s[8:9], v[132:133], v[0:1]
	v_accvgpr_write_b32 a63, v3
	v_add_f64 v[0:1], v[12:13], v[0:1]
	v_accvgpr_write_b32 a62, v2
	v_fma_f64 v[2:3], s[20:21], v[142:143], v[2:3]
	v_add_f64 v[0:1], v[2:3], v[0:1]
	v_mul_f64 v[2:3], v[108:109], s[30:31]
	v_accvgpr_write_b32 a75, v3
	v_mul_f64 v[4:5], v[110:111], s[40:41]
	v_accvgpr_write_b32 a74, v2
	v_fma_f64 v[2:3], v[134:135], s[8:9], -v[2:3]
	v_accvgpr_write_b32 a77, v5
	v_add_f64 v[2:3], v[14:15], v[2:3]
	v_accvgpr_write_b32 a76, v4
	v_fma_f64 v[4:5], v[144:145], s[20:21], -v[4:5]
	s_mov_b32 s55, 0x3fc7851a
	s_mov_b32 s54, s44
	v_add_f64 v[2:3], v[4:5], v[2:3]
	v_mul_f64 v[4:5], v[114:115], s[54:55]
	v_accvgpr_write_b32 a65, v5
	v_accvgpr_write_b32 a64, v4
	v_fma_f64 v[4:5], s[28:29], v[150:151], v[4:5]
	v_mul_f64 v[244:245], v[112:113], s[54:55]
	v_add_f64 v[0:1], v[4:5], v[0:1]
	v_fma_f64 v[4:5], v[152:153], s[28:29], -v[244:245]
	v_add_f64 v[2:3], v[4:5], v[2:3]
	v_mul_f64 v[4:5], v[118:119], s[48:49]
	v_accvgpr_write_b32 a67, v5
	v_accvgpr_write_b32 a66, v4
	v_fma_f64 v[4:5], s[10:11], v[158:159], v[4:5]
	v_mul_f64 v[246:247], v[116:117], s[48:49]
	v_add_f64 v[0:1], v[4:5], v[0:1]
	v_fma_f64 v[4:5], v[160:161], s[10:11], -v[246:247]
	s_mov_b32 s57, 0x3fe58eea
	s_mov_b32 s56, s26
	v_add_f64 v[2:3], v[4:5], v[2:3]
	v_mul_f64 v[4:5], v[228:229], s[56:57]
	v_accvgpr_write_b32 a69, v5
	v_accvgpr_write_b32 a68, v4
	v_fma_f64 v[4:5], s[16:17], v[162:163], v[4:5]
	v_mul_f64 v[250:251], v[222:223], s[56:57]
	v_add_f64 v[0:1], v[4:5], v[0:1]
	v_fma_f64 v[4:5], v[166:167], s[16:17], -v[250:251]
	v_add_f64 v[2:3], v[4:5], v[2:3]
	v_mul_f64 v[4:5], v[248:249], s[22:23]
	v_accvgpr_write_b32 a71, v5
	v_accvgpr_write_b32 a70, v4
	v_fma_f64 v[4:5], s[0:1], v[170:171], v[4:5]
	v_mul_f64 v[252:253], v[242:243], s[22:23]
	v_add_f64 v[0:1], v[4:5], v[0:1]
	v_fma_f64 v[4:5], v[172:173], s[0:1], -v[252:253]
	;; [unrolled: 8-line block ×4, first 2 shown]
	v_mul_f64 v[126:127], v[104:105], s[36:37]
	v_add_f64 v[226:227], v[0:1], v[2:3]
	v_fma_f64 v[0:1], s[18:19], v[132:133], v[126:127]
	v_mul_f64 v[128:129], v[106:107], s[44:45]
	v_add_f64 v[0:1], v[12:13], v[0:1]
	v_fma_f64 v[2:3], s[28:29], v[142:143], v[128:129]
	v_mul_f64 v[138:139], v[108:109], s[36:37]
	v_add_f64 v[0:1], v[2:3], v[0:1]
	v_fma_f64 v[2:3], v[134:135], s[18:19], -v[138:139]
	v_mul_f64 v[154:155], v[110:111], s[44:45]
	v_add_f64 v[2:3], v[14:15], v[2:3]
	v_fma_f64 v[4:5], v[144:145], s[28:29], -v[154:155]
	v_mul_f64 v[130:131], v[114:115], s[48:49]
	v_add_f64 v[2:3], v[4:5], v[2:3]
	v_fma_f64 v[4:5], s[10:11], v[150:151], v[130:131]
	v_mul_f64 v[164:165], v[112:113], s[48:49]
	v_add_f64 v[0:1], v[4:5], v[0:1]
	v_fma_f64 v[4:5], v[152:153], s[10:11], -v[164:165]
	v_mul_f64 v[136:137], v[118:119], s[52:53]
	v_add_f64 v[2:3], v[4:5], v[2:3]
	v_fma_f64 v[4:5], s[0:1], v[158:159], v[136:137]
	v_mul_f64 v[174:175], v[116:117], s[52:53]
	v_add_f64 v[0:1], v[4:5], v[0:1]
	v_fma_f64 v[4:5], v[160:161], s[0:1], -v[174:175]
	v_mul_f64 v[140:141], v[228:229], s[30:31]
	v_add_f64 v[2:3], v[4:5], v[2:3]
	v_fma_f64 v[4:5], s[8:9], v[162:163], v[140:141]
	v_mul_f64 v[182:183], v[222:223], s[30:31]
	v_add_f64 v[0:1], v[4:5], v[0:1]
	v_fma_f64 v[4:5], v[166:167], s[8:9], -v[182:183]
	v_mul_f64 v[156:157], v[248:249], s[42:43]
	v_add_f64 v[2:3], v[4:5], v[2:3]
	v_fma_f64 v[4:5], s[24:25], v[170:171], v[156:157]
	v_mul_f64 v[184:185], v[242:243], s[42:43]
	s_mov_b32 s61, 0x3fe9895b
	s_mov_b32 s60, s40
	v_add_f64 v[0:1], v[4:5], v[0:1]
	v_fma_f64 v[4:5], v[172:173], s[24:25], -v[184:185]
	v_mul_f64 v[168:169], v[124:125], s[60:61]
	v_add_f64 v[2:3], v[4:5], v[2:3]
	v_fma_f64 v[4:5], s[20:21], v[176:177], v[168:169]
	v_add_f64 v[4:5], v[4:5], v[0:1]
	v_mul_f64 v[0:1], v[122:123], s[60:61]
	v_fma_f64 v[6:7], v[180:181], s[20:21], -v[0:1]
	v_mul_f64 v[178:179], v[148:149], s[56:57]
	v_add_f64 v[6:7], v[6:7], v[2:3]
	v_fma_f64 v[2:3], s[16:17], v[190:191], v[178:179]
	v_add_f64 v[84:85], v[2:3], v[4:5]
	v_mul_f64 v[2:3], v[146:147], s[56:57]
	v_fma_f64 v[4:5], v[198:199], s[16:17], -v[2:3]
	v_add_f64 v[86:87], v[4:5], v[6:7]
	v_mul_f64 v[4:5], v[104:105], s[38:39]
	v_fma_f64 v[6:7], s[10:11], v[132:133], v[4:5]
	v_add_f64 v[8:9], v[12:13], v[6:7]
	v_mul_f64 v[6:7], v[106:107], s[46:47]
	v_fma_f64 v[10:11], s[24:25], v[142:143], v[6:7]
	v_mul_f64 v[186:187], v[108:109], s[38:39]
	v_add_f64 v[10:11], v[10:11], v[8:9]
	v_fma_f64 v[8:9], v[134:135], s[10:11], -v[186:187]
	v_mul_f64 v[192:193], v[110:111], s[46:47]
	v_add_f64 v[8:9], v[14:15], v[8:9]
	v_fma_f64 v[80:81], v[144:145], s[24:25], -v[192:193]
	v_add_f64 v[80:81], v[80:81], v[8:9]
	v_mul_f64 v[8:9], v[114:115], s[56:57]
	v_fma_f64 v[82:83], s[16:17], v[150:151], v[8:9]
	v_mul_f64 v[196:197], v[112:113], s[56:57]
	v_add_f64 v[82:83], v[82:83], v[10:11]
	v_fma_f64 v[10:11], v[152:153], s[16:17], -v[196:197]
	v_add_f64 v[80:81], v[10:11], v[80:81]
	v_mul_f64 v[10:11], v[118:119], s[30:31]
	v_fma_f64 v[88:89], s[8:9], v[158:159], v[10:11]
	v_mul_f64 v[202:203], v[116:117], s[30:31]
	v_add_f64 v[82:83], v[88:89], v[82:83]
	v_fma_f64 v[88:89], v[160:161], s[8:9], -v[202:203]
	v_mul_f64 v[188:189], v[228:229], s[44:45]
	v_add_f64 v[88:89], v[88:89], v[80:81]
	v_fma_f64 v[80:81], s[28:29], v[162:163], v[188:189]
	v_add_f64 v[82:83], v[80:81], v[82:83]
	v_mul_f64 v[80:81], v[222:223], s[44:45]
	s_mov_b32 s59, 0x3fefdd0d
	s_mov_b32 s58, s36
	v_fma_f64 v[90:91], v[166:167], s[28:29], -v[80:81]
	v_mul_f64 v[194:195], v[248:249], s[58:59]
	v_add_f64 v[88:89], v[90:91], v[88:89]
	v_fma_f64 v[90:91], s[18:19], v[170:171], v[194:195]
	v_add_f64 v[90:91], v[90:91], v[82:83]
	v_mul_f64 v[82:83], v[242:243], s[58:59]
	v_fma_f64 v[92:93], v[172:173], s[18:19], -v[82:83]
	v_mul_f64 v[200:201], v[124:125], s[22:23]
	v_add_f64 v[88:89], v[92:93], v[88:89]
	v_fma_f64 v[92:93], s[0:1], v[176:177], v[200:201]
	v_mul_f64 v[206:207], v[122:123], s[22:23]
	v_add_f64 v[90:91], v[92:93], v[90:91]
	v_fma_f64 v[92:93], v[180:181], s[0:1], -v[206:207]
	v_mul_f64 v[204:205], v[148:149], s[40:41]
	v_add_f64 v[92:93], v[92:93], v[88:89]
	v_fma_f64 v[88:89], s[20:21], v[190:191], v[204:205]
	v_mul_f64 v[208:209], v[146:147], s[40:41]
	v_add_f64 v[88:89], v[88:89], v[90:91]
	v_fma_f64 v[90:91], v[198:199], s[20:21], -v[208:209]
	v_add_f64 v[90:91], v[90:91], v[92:93]
	s_barrier
	s_and_saveexec_b64 s[34:35], s[4:5]
	s_cbranch_execz .LBB0_7
; %bb.6:
	v_mul_f64 v[92:93], v[134:135], s[28:29]
	v_accvgpr_write_b32 a84, v94
	v_accvgpr_write_b32 a90, v96
	;; [unrolled: 1-line block ×3, first 2 shown]
	v_fma_f64 v[94:95], s[54:55], v[108:109], v[92:93]
	v_accvgpr_write_b32 a91, v97
	v_mul_f64 v[96:97], v[144:145], s[0:1]
	v_accvgpr_write_b32 a86, v98
	v_add_f64 v[94:95], v[14:15], v[94:95]
	v_accvgpr_write_b32 a87, v99
	v_fma_f64 v[98:99], s[22:23], v[110:111], v[96:97]
	v_add_f64 v[94:95], v[98:99], v[94:95]
	v_mul_f64 v[98:99], v[152:153], s[24:25]
	v_accvgpr_write_b32 a92, v100
	v_accvgpr_write_b32 a93, v101
	v_fma_f64 v[100:101], s[46:47], v[112:113], v[98:99]
	v_add_f64 v[94:95], v[100:101], v[94:95]
	v_mul_f64 v[100:101], v[160:161], s[16:17]
	v_accvgpr_write_b32 a88, v102
	;; [unrolled: 5-line block ×3, first 2 shown]
	v_accvgpr_write_b32 a5, v211
	v_accvgpr_write_b32 a6, v212
	;; [unrolled: 1-line block ×3, first 2 shown]
	v_fma_f64 v[210:211], s[60:61], v[222:223], v[102:103]
	v_add_f64 v[94:95], v[210:211], v[94:95]
	v_mul_f64 v[210:211], v[172:173], s[8:9]
	v_fma_f64 v[212:213], s[30:31], v[242:243], v[210:211]
	v_add_f64 v[94:95], v[212:213], v[94:95]
	v_mul_f64 v[212:213], v[180:181], s[10:11]
	v_accvgpr_write_b32 a8, v214
	v_accvgpr_write_b32 a9, v215
	;; [unrolled: 1-line block ×4, first 2 shown]
	v_fma_f64 v[214:215], s[48:49], v[122:123], v[212:213]
	v_add_f64 v[94:95], v[214:215], v[94:95]
	v_mul_f64 v[214:215], v[104:105], s[44:45]
	v_accvgpr_write_b32 a0, v218
	v_fma_f64 v[216:217], s[28:29], v[132:133], v[214:215]
	v_accvgpr_write_b32 a1, v219
	v_mul_f64 v[218:219], v[106:107], s[52:53]
	v_add_f64 v[216:217], v[12:13], v[216:217]
	v_accvgpr_write_b32 a2, v220
	v_fma_f64 v[220:221], s[0:1], v[142:143], v[218:219]
	v_add_f64 v[216:217], v[220:221], v[216:217]
	v_mul_f64 v[220:221], v[114:115], s[42:43]
	v_accvgpr_write_b32 a12, v224
	v_accvgpr_write_b32 a13, v225
	;; [unrolled: 1-line block ×4, first 2 shown]
	v_fma_f64 v[224:225], s[24:25], v[150:151], v[220:221]
	v_add_f64 v[216:217], v[224:225], v[216:217]
	v_mul_f64 v[224:225], v[118:119], s[56:57]
	v_fma_f64 v[226:227], s[16:17], v[158:159], v[224:225]
	v_add_f64 v[216:217], v[226:227], v[216:217]
	v_mul_f64 v[226:227], v[228:229], s[40:41]
	v_accvgpr_write_b32 a98, v230
	v_accvgpr_write_b32 a99, v231
	v_fma_f64 v[230:231], s[20:21], v[162:163], v[226:227]
	v_add_f64 v[216:217], v[230:231], v[216:217]
	v_mul_f64 v[230:231], v[248:249], s[50:51]
	v_accvgpr_write_b32 a94, v234
	v_accvgpr_write_b32 a95, v235
	;; [unrolled: 5-line block ×4, first 2 shown]
	v_fma_f64 v[238:239], s[36:37], v[146:147], v[236:237]
	v_accvgpr_write_b32 a104, v246
	v_fmac_f64_e32 v[92:93], s[44:45], v[108:109]
	v_accvgpr_write_b32 a105, v247
	v_add_f64 v[246:247], v[238:239], v[94:95]
	v_mul_f64 v[238:239], v[148:149], s[58:59]
	v_fmac_f64_e32 v[96:97], s[52:53], v[110:111]
	v_add_f64 v[92:93], v[14:15], v[92:93]
	v_fma_f64 v[94:95], s[18:19], v[190:191], v[238:239]
	v_accvgpr_write_b32 a106, v244
	v_add_f64 v[92:93], v[96:97], v[92:93]
	v_fma_f64 v[96:97], v[132:133], s[28:29], -v[214:215]
	v_accvgpr_write_b32 a107, v245
	v_add_f64 v[244:245], v[94:95], v[216:217]
	v_fmac_f64_e32 v[98:99], s[42:43], v[112:113]
	v_fma_f64 v[94:95], v[142:143], s[0:1], -v[218:219]
	v_add_f64 v[96:97], v[12:13], v[96:97]
	v_add_f64 v[92:93], v[98:99], v[92:93]
	v_fmac_f64_e32 v[100:101], s[56:57], v[116:117]
	v_add_f64 v[94:95], v[94:95], v[96:97]
	v_fma_f64 v[96:97], v[150:151], s[24:25], -v[220:221]
	v_add_f64 v[92:93], v[100:101], v[92:93]
	v_fmac_f64_e32 v[102:103], s[40:41], v[222:223]
	v_add_f64 v[94:95], v[96:97], v[94:95]
	v_fma_f64 v[96:97], v[158:159], s[16:17], -v[224:225]
	;; [unrolled: 4-line block ×4, first 2 shown]
	v_accvgpr_write_b32 a80, v244
	v_add_f64 v[92:93], v[212:213], v[92:93]
	v_add_f64 v[94:95], v[96:97], v[94:95]
	v_fma_f64 v[96:97], v[176:177], s[10:11], -v[234:235]
	v_fmac_f64_e32 v[236:237], s[58:59], v[146:147]
	v_accvgpr_write_b32 a81, v245
	v_accvgpr_write_b32 a82, v246
	;; [unrolled: 1-line block ×3, first 2 shown]
	v_add_f64 v[96:97], v[96:97], v[94:95]
	v_add_f64 v[246:247], v[236:237], v[92:93]
	v_fma_f64 v[92:93], v[190:191], s[18:19], -v[238:239]
	v_mul_f64 v[100:101], v[134:135], s[24:25]
	v_add_f64 v[244:245], v[92:93], v[96:97]
	v_fma_f64 v[96:97], s[46:47], v[108:109], v[100:101]
	v_mul_f64 v[102:103], v[144:145], s[8:9]
	v_add_f64 v[96:97], v[14:15], v[96:97]
	v_fma_f64 v[98:99], s[30:31], v[110:111], v[102:103]
	;; [unrolled: 3-line block ×9, first 2 shown]
	v_add_f64 v[98:99], v[226:227], v[98:99]
	v_mul_f64 v[226:227], v[114:115], s[36:37]
	v_fma_f64 v[230:231], s[18:19], v[150:151], v[226:227]
	v_add_f64 v[98:99], v[230:231], v[98:99]
	v_mul_f64 v[230:231], v[118:119], s[60:61]
	v_fma_f64 v[234:235], s[20:21], v[158:159], v[230:231]
	;; [unrolled: 3-line block ×5, first 2 shown]
	v_mul_f64 v[94:95], v[198:199], s[10:11]
	v_accvgpr_write_b32 a102, v240
	v_add_f64 v[92:93], v[92:93], v[98:99]
	v_fma_f64 v[98:99], s[48:49], v[146:147], v[94:95]
	v_accvgpr_write_b32 a103, v241
	v_mul_f64 v[240:241], v[148:149], s[38:39]
	v_add_f64 v[98:99], v[98:99], v[96:97]
	v_fma_f64 v[96:97], s[10:11], v[190:191], v[240:241]
	v_fmac_f64_e32 v[100:101], s[42:43], v[108:109]
	v_add_f64 v[96:97], v[96:97], v[92:93]
	v_fmac_f64_e32 v[102:103], s[50:51], v[110:111]
	v_add_f64 v[92:93], v[14:15], v[100:101]
	v_add_f64 v[92:93], v[102:103], v[92:93]
	v_fma_f64 v[102:103], v[132:133], s[24:25], -v[220:221]
	v_fmac_f64_e32 v[210:211], s[36:37], v[112:113]
	v_fma_f64 v[100:101], v[142:143], s[8:9], -v[224:225]
	v_add_f64 v[102:103], v[12:13], v[102:103]
	v_add_f64 v[92:93], v[210:211], v[92:93]
	v_fmac_f64_e32 v[212:213], s[60:61], v[116:117]
	v_add_f64 v[100:101], v[100:101], v[102:103]
	v_fma_f64 v[102:103], v[150:151], s[18:19], -v[226:227]
	v_add_f64 v[92:93], v[212:213], v[92:93]
	v_fmac_f64_e32 v[214:215], s[22:23], v[222:223]
	v_add_f64 v[100:101], v[102:103], v[100:101]
	v_fma_f64 v[102:103], v[158:159], s[20:21], -v[230:231]
	;; [unrolled: 4-line block ×4, first 2 shown]
	v_add_f64 v[92:93], v[218:219], v[92:93]
	v_add_f64 v[100:101], v[102:103], v[100:101]
	v_fma_f64 v[102:103], v[176:177], s[16:17], -v[238:239]
	v_fmac_f64_e32 v[94:95], s[38:39], v[146:147]
	v_add_f64 v[100:101], v[102:103], v[100:101]
	v_add_f64 v[102:103], v[94:95], v[92:93]
	v_fma_f64 v[92:93], v[190:191], s[10:11], -v[240:241]
	v_add_f64 v[100:101], v[92:93], v[100:101]
	v_mul_f64 v[92:93], v[134:135], s[20:21]
	v_fma_f64 v[94:95], s[60:61], v[108:109], v[92:93]
	v_mul_f64 v[210:211], v[144:145], s[10:11]
	v_add_f64 v[94:95], v[14:15], v[94:95]
	v_fma_f64 v[212:213], s[38:39], v[110:111], v[210:211]
	v_add_f64 v[94:95], v[212:213], v[94:95]
	v_mul_f64 v[212:213], v[152:153], s[0:1]
	v_fma_f64 v[214:215], s[52:53], v[112:113], v[212:213]
	v_add_f64 v[94:95], v[214:215], v[94:95]
	v_mul_f64 v[214:215], v[160:161], s[24:25]
	;; [unrolled: 3-line block ×5, first 2 shown]
	v_fma_f64 v[224:225], s[54:55], v[122:123], v[220:221]
	v_mul_f64 v[226:227], v[104:105], s[40:41]
	v_add_f64 v[94:95], v[224:225], v[94:95]
	v_mul_f64 v[224:225], v[106:107], s[48:49]
	v_fma_f64 v[104:105], s[20:21], v[132:133], v[226:227]
	v_fmac_f64_e32 v[210:211], s[48:49], v[110:111]
	v_fma_f64 v[110:111], v[132:133], s[20:21], -v[226:227]
	v_add_f64 v[104:105], v[12:13], v[104:105]
	v_fma_f64 v[106:107], s[10:11], v[142:143], v[224:225]
	v_mul_f64 v[114:115], v[114:115], s[22:23]
	v_fmac_f64_e32 v[92:93], s[40:41], v[108:109]
	v_fma_f64 v[108:109], v[142:143], s[10:11], -v[224:225]
	v_add_f64 v[110:111], v[12:13], v[110:111]
	v_add_f64 v[104:105], v[106:107], v[104:105]
	v_fma_f64 v[106:107], s[0:1], v[150:151], v[114:115]
	v_mul_f64 v[118:119], v[118:119], s[42:43]
	v_add_f64 v[108:109], v[108:109], v[110:111]
	v_fma_f64 v[110:111], v[150:151], s[0:1], -v[114:115]
	v_add_f64 v[104:105], v[106:107], v[104:105]
	v_fma_f64 v[106:107], s[24:25], v[158:159], v[118:119]
	v_add_f64 v[108:109], v[110:111], v[108:109]
	v_fma_f64 v[110:111], v[158:159], s[24:25], -v[118:119]
	v_mul_f64 v[118:119], v[134:135], s[10:11]
	v_fmac_f64_e32 v[214:215], s[42:43], v[116:117]
	v_mul_f64 v[116:117], v[144:145], s[24:25]
	v_add_f64 v[118:119], v[186:187], v[118:119]
	v_mul_f64 v[114:115], v[152:153], s[16:17]
	v_add_f64 v[116:117], v[192:193], v[116:117]
	v_add_f64 v[118:119], v[14:15], v[118:119]
	;; [unrolled: 1-line block ×6, first 2 shown]
	v_mul_f64 v[116:117], v[158:159], s[8:9]
	v_mul_f64 v[228:229], v[228:229], s[58:59]
	v_fmac_f64_e32 v[212:213], s[22:23], v[112:113]
	v_add_f64 v[92:93], v[210:211], v[92:93]
	v_add_f64 v[10:11], v[116:117], -v[10:11]
	v_mul_f64 v[116:117], v[150:151], s[16:17]
	v_add_f64 v[104:105], v[106:107], v[104:105]
	v_fma_f64 v[106:107], s[18:19], v[162:163], v[228:229]
	v_mul_f64 v[230:231], v[248:249], s[26:27]
	v_add_f64 v[92:93], v[212:213], v[92:93]
	v_mul_f64 v[112:113], v[172:173], s[18:19]
	v_add_f64 v[8:9], v[116:117], -v[8:9]
	v_mul_f64 v[116:117], v[142:143], s[24:25]
	v_add_f64 v[104:105], v[106:107], v[104:105]
	v_fma_f64 v[106:107], s[16:17], v[170:171], v[230:231]
	v_mul_f64 v[124:125], v[124:125], s[44:45]
	v_fmac_f64_e32 v[216:217], s[58:59], v[222:223]
	v_add_f64 v[92:93], v[214:215], v[92:93]
	v_add_f64 v[82:83], v[82:83], v[112:113]
	v_mul_f64 v[112:113], v[166:167], s[28:29]
	v_add_f64 v[6:7], v[116:117], -v[6:7]
	v_mul_f64 v[116:117], v[132:133], s[10:11]
	v_add_f64 v[104:105], v[106:107], v[104:105]
	v_fma_f64 v[106:107], s[28:29], v[176:177], v[124:125]
	v_mul_f64 v[234:235], v[198:199], s[8:9]
	v_fmac_f64_e32 v[218:219], s[26:27], v[242:243]
	v_add_f64 v[92:93], v[216:217], v[92:93]
	v_add_f64 v[108:109], v[110:111], v[108:109]
	v_fma_f64 v[110:111], v[162:163], s[18:19], -v[228:229]
	v_add_f64 v[80:81], v[80:81], v[112:113]
	v_mul_f64 v[112:113], v[160:161], s[8:9]
	v_add_f64 v[4:5], v[116:117], -v[4:5]
	v_add_f64 v[104:105], v[106:107], v[104:105]
	v_fma_f64 v[106:107], s[30:31], v[146:147], v[234:235]
	v_fmac_f64_e32 v[220:221], s[44:45], v[122:123]
	v_add_f64 v[92:93], v[218:219], v[92:93]
	v_add_f64 v[108:109], v[110:111], v[108:109]
	v_fma_f64 v[110:111], v[170:171], s[16:17], -v[230:231]
	v_add_f64 v[112:113], v[202:203], v[112:113]
	v_add_f64 v[4:5], v[12:13], v[4:5]
	;; [unrolled: 1-line block ×3, first 2 shown]
	v_mul_f64 v[94:95], v[148:149], s[50:51]
	v_fmac_f64_e32 v[234:235], s[50:51], v[146:147]
	v_add_f64 v[92:93], v[220:221], v[92:93]
	v_add_f64 v[108:109], v[110:111], v[108:109]
	v_fma_f64 v[110:111], v[176:177], s[28:29], -v[124:125]
	v_add_f64 v[112:113], v[112:113], v[114:115]
	v_add_f64 v[4:5], v[6:7], v[4:5]
	v_fma_f64 v[148:149], s[8:9], v[190:191], v[94:95]
	v_add_f64 v[108:109], v[110:111], v[108:109]
	v_add_f64 v[110:111], v[234:235], v[92:93]
	v_fma_f64 v[92:93], v[190:191], s[8:9], -v[94:95]
	v_mul_f64 v[94:95], v[180:181], s[0:1]
	v_add_f64 v[80:81], v[80:81], v[112:113]
	v_mul_f64 v[114:115], v[162:163], s[28:29]
	v_add_f64 v[4:5], v[8:9], v[4:5]
	v_add_f64 v[94:95], v[206:207], v[94:95]
	;; [unrolled: 1-line block ×3, first 2 shown]
	v_mul_f64 v[112:113], v[170:171], s[18:19]
	v_add_f64 v[114:115], v[114:115], -v[188:189]
	v_add_f64 v[4:5], v[10:11], v[4:5]
	v_add_f64 v[80:81], v[94:95], v[80:81]
	v_mul_f64 v[94:95], v[176:177], s[0:1]
	v_add_f64 v[112:113], v[112:113], -v[194:195]
	v_add_f64 v[4:5], v[114:115], v[4:5]
	v_mul_f64 v[82:83], v[190:191], s[20:21]
	v_add_f64 v[94:95], v[94:95], -v[200:201]
	v_add_f64 v[4:5], v[112:113], v[4:5]
	v_add_f64 v[108:109], v[92:93], v[108:109]
	v_mul_f64 v[92:93], v[198:199], s[20:21]
	v_add_f64 v[82:83], v[82:83], -v[204:205]
	v_add_f64 v[4:5], v[94:95], v[4:5]
	v_add_f64 v[92:93], v[208:209], v[92:93]
	;; [unrolled: 1-line block ×3, first 2 shown]
	v_mul_f64 v[82:83], v[134:135], s[18:19]
	v_add_f64 v[114:115], v[92:93], v[80:81]
	v_mul_f64 v[80:81], v[144:145], s[28:29]
	v_add_f64 v[82:83], v[138:139], v[82:83]
	v_mul_f64 v[94:95], v[132:133], s[18:19]
	v_mul_f64 v[10:11], v[152:153], s[10:11]
	v_add_f64 v[80:81], v[154:155], v[80:81]
	v_add_f64 v[82:83], v[14:15], v[82:83]
	v_mul_f64 v[92:93], v[142:143], s[28:29]
	v_add_f64 v[94:95], v[94:95], -v[126:127]
	v_mul_f64 v[4:5], v[198:199], s[16:17]
	v_mul_f64 v[8:9], v[160:161], s[0:1]
	v_add_f64 v[10:11], v[164:165], v[10:11]
	v_add_f64 v[80:81], v[80:81], v[82:83]
	v_mul_f64 v[82:83], v[150:151], s[10:11]
	v_add_f64 v[92:93], v[92:93], -v[128:129]
	v_add_f64 v[94:95], v[12:13], v[94:95]
	v_add_f64 v[2:3], v[2:3], v[4:5]
	v_mul_f64 v[4:5], v[180:181], s[20:21]
	v_mul_f64 v[6:7], v[166:167], s[8:9]
	v_add_f64 v[8:9], v[174:175], v[8:9]
	v_add_f64 v[10:11], v[10:11], v[80:81]
	v_mul_f64 v[80:81], v[158:159], s[0:1]
	v_add_f64 v[82:83], v[82:83], -v[130:131]
	v_add_f64 v[92:93], v[92:93], v[94:95]
	v_add_f64 v[0:1], v[0:1], v[4:5]
	v_mul_f64 v[4:5], v[172:173], s[24:25]
	v_add_f64 v[6:7], v[182:183], v[6:7]
	v_add_f64 v[8:9], v[8:9], v[10:11]
	v_mul_f64 v[10:11], v[162:163], s[8:9]
	v_add_f64 v[80:81], v[80:81], -v[136:137]
	v_add_f64 v[82:83], v[82:83], v[92:93]
	v_add_f64 v[4:5], v[184:185], v[4:5]
	;; [unrolled: 1-line block ×3, first 2 shown]
	v_mul_f64 v[8:9], v[170:171], s[24:25]
	v_add_f64 v[10:11], v[10:11], -v[140:141]
	v_add_f64 v[80:81], v[80:81], v[82:83]
	v_add_f64 v[4:5], v[4:5], v[6:7]
	v_mul_f64 v[6:7], v[176:177], s[20:21]
	v_add_f64 v[8:9], v[8:9], -v[156:157]
	v_add_f64 v[10:11], v[10:11], v[80:81]
	v_add_f64 v[6:7], v[6:7], -v[168:169]
	v_add_f64 v[8:9], v[8:9], v[10:11]
	v_accvgpr_read_b32 v10, a104
	v_add_f64 v[6:7], v[6:7], v[8:9]
	v_mul_f64 v[8:9], v[160:161], s[10:11]
	v_accvgpr_read_b32 v11, a105
	v_accvgpr_read_b32 v80, a106
	v_add_f64 v[8:9], v[10:11], v[8:9]
	v_mul_f64 v[10:11], v[152:153], s[28:29]
	v_accvgpr_read_b32 v81, a107
	;; [unrolled: 4-line block ×4, first 2 shown]
	v_add_f64 v[82:83], v[92:93], v[82:83]
	v_add_f64 v[0:1], v[0:1], v[4:5]
	v_mul_f64 v[4:5], v[190:191], s[16:17]
	v_add_f64 v[82:83], v[14:15], v[82:83]
	v_add_f64 v[4:5], v[4:5], -v[178:179]
	v_add_f64 v[80:81], v[80:81], v[82:83]
	v_add_f64 v[116:117], v[4:5], v[6:7]
	v_mul_f64 v[6:7], v[166:167], s[16:17]
	v_add_f64 v[10:11], v[10:11], v[80:81]
	v_mul_f64 v[4:5], v[172:173], s[0:1]
	v_add_f64 v[6:7], v[250:251], v[6:7]
	v_add_f64 v[8:9], v[8:9], v[10:11]
	;; [unrolled: 1-line block ×3, first 2 shown]
	v_mul_f64 v[2:3], v[180:181], s[18:19]
	v_add_f64 v[4:5], v[252:253], v[4:5]
	v_add_f64 v[6:7], v[6:7], v[8:9]
	;; [unrolled: 1-line block ×4, first 2 shown]
	v_accvgpr_read_b32 v127, a79
	v_add_f64 v[2:3], v[2:3], v[4:5]
	v_mul_f64 v[4:5], v[190:191], s[24:25]
	v_accvgpr_read_b32 v126, a78
	v_accvgpr_read_b32 v129, a73
	v_mul_f64 v[0:1], v[198:199], s[24:25]
	v_add_f64 v[4:5], v[4:5], -v[126:127]
	v_mul_f64 v[126:127], v[176:177], s[18:19]
	v_accvgpr_read_b32 v128, a72
	v_accvgpr_read_b32 v131, a71
	v_add_f64 v[0:1], v[120:121], v[0:1]
	v_mul_f64 v[92:93], v[132:133], s[0:1]
	v_mul_f64 v[80:81], v[132:133], s[16:17]
	;; [unrolled: 1-line block ×5, first 2 shown]
	v_add_f64 v[126:127], v[126:127], -v[128:129]
	v_mul_f64 v[128:129], v[170:171], s[0:1]
	v_accvgpr_read_b32 v130, a70
	v_accvgpr_read_b32 v133, a69
	;; [unrolled: 1-line block ×3, first 2 shown]
	v_add_f64 v[128:129], v[128:129], -v[130:131]
	v_mul_f64 v[130:131], v[162:163], s[16:17]
	v_accvgpr_read_b32 v132, a68
	v_accvgpr_read_b32 v144, a60
	;; [unrolled: 1-line block ×3, first 2 shown]
	v_add_f64 v[130:131], v[130:131], -v[132:133]
	v_mul_f64 v[132:133], v[158:159], s[10:11]
	v_add_f64 v[120:121], v[120:121], -v[144:145]
	v_mul_f64 v[144:145], v[158:159], s[18:19]
	v_mul_f64 v[146:147], v[158:159], s[28:29]
	;; [unrolled: 1-line block ×3, first 2 shown]
	v_accvgpr_read_b32 v168, a56
	v_add_f64 v[158:159], v[168:169], v[158:159]
	v_accvgpr_read_b32 v169, a55
	v_accvgpr_read_b32 v139, a63
	v_mul_f64 v[156:157], v[172:173], s[10:11]
	v_accvgpr_read_b32 v168, a54
	v_mul_f64 v[124:125], v[142:143], s[20:21]
	v_accvgpr_read_b32 v138, a62
	v_add_f64 v[156:157], v[168:169], v[156:157]
	v_accvgpr_read_b32 v169, a51
	v_mul_f64 v[122:123], v[142:143], s[16:17]
	v_mul_f64 v[10:11], v[142:143], s[18:19]
	v_add_f64 v[124:125], v[124:125], -v[138:139]
	v_mul_f64 v[138:139], v[152:153], s[8:9]
	v_mul_f64 v[142:143], v[152:153], s[20:21]
	v_mul_f64 v[152:153], v[166:167], s[24:25]
	v_accvgpr_read_b32 v168, a50
	v_add_f64 v[152:153], v[168:169], v[152:153]
	v_accvgpr_read_b32 v169, a47
	v_add_f64 v[104:105], v[148:149], v[104:105]
	v_mul_f64 v[148:149], v[160:161], s[28:29]
	v_accvgpr_read_b32 v168, a46
	v_add_f64 v[148:149], v[168:169], v[148:149]
	v_accvgpr_read_b32 v169, a43
	v_accvgpr_read_b32 v168, a42
	v_add_f64 v[142:143], v[168:169], v[142:143]
	v_accvgpr_read_b32 v169, a39
	;; [unrolled: 3-line block ×3, first 2 shown]
	v_mul_f64 v[94:95], v[134:135], s[16:17]
	v_accvgpr_read_b32 v168, a36
	v_add_f64 v[94:95], v[168:169], v[94:95]
	v_add_f64 v[94:95], v[14:15], v[94:95]
	v_mul_f64 v[82:83], v[134:135], s[0:1]
	v_accvgpr_read_b32 v135, a67
	v_add_f64 v[6:7], v[6:7], v[94:95]
	v_accvgpr_read_b32 v134, a66
	v_accvgpr_read_b32 v137, a65
	v_add_f64 v[6:7], v[142:143], v[6:7]
	v_add_f64 v[132:133], v[132:133], -v[134:135]
	v_mul_f64 v[134:135], v[150:151], s[28:29]
	v_accvgpr_read_b32 v136, a64
	v_add_f64 v[6:7], v[148:149], v[6:7]
	v_accvgpr_read_b32 v149, a41
	v_add_f64 v[134:135], v[134:135], -v[136:137]
	v_mul_f64 v[136:137], v[150:151], s[8:9]
	v_mul_f64 v[140:141], v[150:151], s[20:21]
	;; [unrolled: 1-line block ×3, first 2 shown]
	v_accvgpr_read_b32 v148, a40
	v_add_f64 v[148:149], v[150:151], -v[148:149]
	v_accvgpr_read_b32 v151, a35
	v_accvgpr_read_b32 v150, a34
	v_add_f64 v[146:147], v[146:147], -v[150:151]
	v_accvgpr_read_b32 v151, a33
	v_add_f64 v[120:121], v[12:13], v[120:121]
	v_accvgpr_read_b32 v150, a32
	v_add_f64 v[120:121], v[124:125], v[120:121]
	v_add_f64 v[140:141], v[140:141], -v[150:151]
	v_accvgpr_read_b32 v151, a31
	v_add_f64 v[120:121], v[134:135], v[120:121]
	v_accvgpr_read_b32 v150, a30
	v_add_f64 v[120:121], v[132:133], v[120:121]
	;; [unrolled: 5-line block ×3, first 2 shown]
	v_add_f64 v[80:81], v[80:81], -v[150:151]
	v_add_f64 v[120:121], v[126:127], v[120:121]
	v_accvgpr_read_b32 v143, a49
	v_add_f64 v[80:81], v[12:13], v[80:81]
	v_add_f64 v[2:3], v[0:1], v[2:3]
	v_add_f64 v[0:1], v[4:5], v[120:121]
	v_mul_f64 v[4:5], v[176:177], s[8:9]
	v_accvgpr_read_b32 v142, a48
	v_add_f64 v[10:11], v[10:11], v[80:81]
	v_add_f64 v[4:5], v[4:5], -v[142:143]
	v_accvgpr_read_b32 v143, a45
	v_add_f64 v[10:11], v[140:141], v[10:11]
	v_mul_f64 v[154:155], v[170:171], s[10:11]
	v_accvgpr_read_b32 v142, a44
	v_add_f64 v[10:11], v[146:147], v[10:11]
	v_accvgpr_read_b32 v81, a23
	v_mul_f64 v[120:121], v[180:181], s[24:25]
	v_accvgpr_read_b32 v95, a53
	v_add_f64 v[142:143], v[154:155], -v[142:143]
	v_add_f64 v[10:11], v[148:149], v[10:11]
	v_accvgpr_read_b32 v80, a22
	v_mul_f64 v[132:133], v[166:167], s[10:11]
	v_mul_f64 v[166:167], v[190:191], s[0:1]
	v_accvgpr_read_b32 v94, a52
	v_add_f64 v[10:11], v[142:143], v[10:11]
	v_add_f64 v[80:81], v[80:81], v[120:121]
	v_accvgpr_read_b32 v121, a103
	v_add_f64 v[94:95], v[166:167], -v[94:95]
	v_add_f64 v[4:5], v[4:5], v[10:11]
	v_accvgpr_read_b32 v120, a102
	v_add_f64 v[4:5], v[94:95], v[4:5]
	v_accvgpr_read_b32 v95, a19
	;; [unrolled: 2-line block ×3, first 2 shown]
	v_mul_f64 v[128:129], v[172:173], s[20:21]
	v_accvgpr_read_b32 v94, a18
	v_accvgpr_read_b32 v132, a92
	v_add_f64 v[94:95], v[94:95], v[128:129]
	v_accvgpr_read_b32 v129, a101
	v_add_f64 v[8:9], v[132:133], v[8:9]
	v_accvgpr_read_b32 v133, a91
	v_mul_f64 v[124:125], v[160:161], s[18:19]
	v_accvgpr_read_b32 v128, a100
	v_accvgpr_read_b32 v132, a90
	v_add_f64 v[124:125], v[128:129], v[124:125]
	v_accvgpr_read_b32 v129, a99
	v_add_f64 v[82:83], v[132:133], v[82:83]
	;; [unrolled: 2-line block ×3, first 2 shown]
	v_add_f64 v[128:129], v[128:129], v[138:139]
	v_add_f64 v[8:9], v[8:9], v[82:83]
	;; [unrolled: 1-line block ×7, first 2 shown]
	v_accvgpr_read_b32 v81, a21
	v_mul_f64 v[126:127], v[176:177], s[24:25]
	v_accvgpr_read_b32 v80, a20
	v_add_f64 v[80:81], v[126:127], -v[80:81]
	v_accvgpr_read_b32 v127, a87
	v_accvgpr_read_b32 v126, a86
	v_add_f64 v[122:123], v[122:123], -v[126:127]
	v_accvgpr_read_b32 v127, a85
	v_accvgpr_read_b32 v126, a84
	v_add_f64 v[92:93], v[92:93], -v[126:127]
	v_add_f64 v[92:93], v[12:13], v[92:93]
	v_add_f64 v[14:15], v[14:15], v[18:19]
	;; [unrolled: 1-line block ×17, first 2 shown]
	v_accvgpr_read_b32 v125, a89
	v_add_f64 v[14:15], v[14:15], v[50:51]
	v_add_f64 v[12:13], v[12:13], v[48:49]
	v_accvgpr_read_b32 v121, a95
	v_accvgpr_read_b32 v124, a88
	v_add_f64 v[14:15], v[14:15], v[54:55]
	v_add_f64 v[12:13], v[12:13], v[52:53]
	v_accvgpr_read_b32 v10, a26
	v_accvgpr_read_b32 v94, a96
	;; [unrolled: 1-line block ×3, first 2 shown]
	v_add_f64 v[124:125], v[136:137], -v[124:125]
	v_add_f64 v[92:93], v[122:123], v[92:93]
	v_add_f64 v[14:15], v[14:15], v[58:59]
	;; [unrolled: 1-line block ×3, first 2 shown]
	v_mul_f64 v[134:135], v[162:163], s[10:11]
	v_mul_f64 v[164:165], v[198:199], s[28:29]
	v_accvgpr_read_b32 v11, a27
	v_accvgpr_read_b32 v83, a17
	;; [unrolled: 1-line block ×3, first 2 shown]
	v_add_f64 v[120:121], v[144:145], -v[120:121]
	v_add_f64 v[92:93], v[124:125], v[92:93]
	v_add_f64 v[14:15], v[14:15], v[62:63]
	;; [unrolled: 1-line block ×3, first 2 shown]
	v_accvgpr_read_b32 v219, a1
	v_mul_f64 v[130:131], v[170:171], s[20:21]
	v_accvgpr_read_b32 v163, a59
	v_add_f64 v[10:11], v[10:11], v[164:165]
	v_accvgpr_read_b32 v82, a16
	v_add_f64 v[94:95], v[134:135], -v[94:95]
	v_add_f64 v[92:93], v[120:121], v[92:93]
	v_add_f64 v[14:15], v[14:15], v[66:67]
	;; [unrolled: 1-line block ×3, first 2 shown]
	v_accvgpr_read_b32 v218, a0
	v_mul_f64 v[160:161], v[198:199], s[0:1]
	v_accvgpr_read_b32 v162, a58
	v_add_f64 v[6:7], v[152:153], v[6:7]
	v_add_f64 v[10:11], v[10:11], v[8:9]
	v_accvgpr_read_b32 v8, a24
	v_add_f64 v[82:83], v[130:131], -v[82:83]
	v_add_f64 v[92:93], v[94:95], v[92:93]
	v_add_f64 v[14:15], v[14:15], v[70:71]
	;; [unrolled: 1-line block ×3, first 2 shown]
	v_accvgpr_read_b32 v213, a7
	v_accvgpr_read_b32 v217, a11
	;; [unrolled: 1-line block ×3, first 2 shown]
	v_add_f64 v[160:161], v[162:163], v[160:161]
	v_mul_f64 v[162:163], v[190:191], s[28:29]
	v_add_f64 v[6:7], v[156:157], v[6:7]
	v_accvgpr_read_b32 v9, a25
	v_add_f64 v[82:83], v[82:83], v[92:93]
	v_add_f64 v[14:15], v[14:15], v[74:75]
	;; [unrolled: 1-line block ×3, first 2 shown]
	v_mul_lo_u16_e32 v16, 17, v218
	v_accvgpr_read_b32 v212, a6
	v_accvgpr_read_b32 v211, a5
	;; [unrolled: 1-line block ×10, first 2 shown]
	v_add_f64 v[6:7], v[158:159], v[6:7]
	v_add_f64 v[8:9], v[162:163], -v[8:9]
	v_add_f64 v[80:81], v[80:81], v[82:83]
	v_add_f64 v[14:15], v[14:15], v[78:79]
	;; [unrolled: 1-line block ×3, first 2 shown]
	v_lshlrev_b32_e32 v16, 4, v16
	v_add_f64 v[6:7], v[160:161], v[6:7]
	v_add_f64 v[8:9], v[8:9], v[80:81]
	ds_write_b128 v16, v[12:15]
	ds_write_b128 v16, v[8:11] offset:16
	ds_write_b128 v16, v[4:7] offset:32
	;; [unrolled: 1-line block ×16, first 2 shown]
.LBB0_7:
	s_or_b64 exec, exec, s[34:35]
	s_movk_i32 s16, 0xf1
	v_mul_lo_u16_sdwa v0, v218, s16 dst_sel:DWORD dst_unused:UNUSED_PAD src0_sel:BYTE_0 src1_sel:DWORD
	v_lshrrev_b16_e32 v1, 12, v0
	v_mul_lo_u16_e32 v0, 17, v1
	s_mov_b64 s[0:1], 0xee
	v_sub_u16_e32 v0, v218, v0
	v_add_u16_e32 v140, 0x77, v218
	v_lshl_add_u64 v[2:3], v[218:219], 0, s[0:1]
	s_mov_b64 s[0:1], 0x165
	v_and_b32_e32 v28, 0xff, v0
	v_mul_lo_u16_sdwa v0, v140, s16 dst_sel:DWORD dst_unused:UNUSED_PAD src0_sel:BYTE_0 src1_sel:DWORD
	v_lshl_add_u64 v[4:5], v[218:219], 0, s[0:1]
	v_lshrrev_b16_e32 v29, 12, v0
	v_mul_lo_u16_e32 v5, 17, v29
	v_sub_u16_e32 v5, v140, v5
	s_load_dwordx4 s[8:11], s[2:3], 0x0
	v_lshlrev_b32_e32 v3, 4, v28
	v_and_b32_e32 v30, 0xff, v5
	s_mov_b32 s2, 0xf0f1
	s_waitcnt lgkmcnt(0)
	s_barrier
	v_lshlrev_b32_e32 v5, 4, v30
	global_load_dwordx4 v[48:51], v3, s[6:7]
	global_load_dwordx4 v[56:59], v5, s[6:7]
	v_mul_u32_u24_sdwa v3, v2, s2 dst_sel:DWORD dst_unused:UNUSED_PAD src0_sel:WORD_0 src1_sel:DWORD
	v_lshrrev_b32_e32 v31, 20, v3
	v_mul_lo_u16_e32 v3, 17, v31
	v_sub_u16_e32 v32, v2, v3
	v_mul_u32_u24_sdwa v3, v4, s2 dst_sel:DWORD dst_unused:UNUSED_PAD src0_sel:WORD_0 src1_sel:DWORD
	v_lshrrev_b32_e32 v33, 20, v3
	s_mov_b64 s[0:1], 0x1dc
	v_mul_lo_u16_e32 v3, 17, v33
	v_lshl_add_u64 v[6:7], v[218:219], 0, s[0:1]
	v_lshlrev_b32_e32 v2, 4, v32
	v_sub_u16_e32 v34, v4, v3
	v_lshlrev_b32_e32 v3, 4, v34
	global_load_dwordx4 v[102:105], v2, s[6:7]
	global_load_dwordx4 v[52:55], v3, s[6:7]
	v_mul_u32_u24_sdwa v2, v6, s2 dst_sel:DWORD dst_unused:UNUSED_PAD src0_sel:WORD_0 src1_sel:DWORD
	v_lshrrev_b32_e32 v35, 20, v2
	v_mul_lo_u16_e32 v2, 17, v35
	v_sub_u16_e32 v44, v6, v2
	v_lshlrev_b32_e32 v2, 4, v44
	s_mov_b64 s[0:1], 0x253
	global_load_dwordx4 v[106:109], v2, s[6:7]
	v_lshl_add_u64 v[2:3], v[218:219], 0, s[0:1]
	v_mul_u32_u24_sdwa v3, v2, s2 dst_sel:DWORD dst_unused:UNUSED_PAD src0_sel:WORD_0 src1_sel:DWORD
	v_lshrrev_b32_e32 v45, 20, v3
	v_mul_lo_u16_e32 v3, 17, v45
	v_sub_u16_e32 v46, v2, v3
	v_lshlrev_b32_e32 v2, 4, v46
	global_load_dwordx4 v[110:113], v2, s[6:7]
	v_mov_b32_e32 v2, 4
	v_lshlrev_b32_sdwa v60, v2, v218 dst_sel:DWORD dst_unused:UNUSED_PAD src0_sel:DWORD src1_sel:WORD_0
	ds_read_b128 v[2:5], v60
	ds_read_b128 v[6:9], v60 offset:1904
	ds_read_b128 v[10:13], v60 offset:11424
	;; [unrolled: 1-line block ×11, first 2 shown]
	v_mul_lo_u16_e32 v1, 34, v1
	v_and_b32_e32 v1, 0xfe, v1
	v_add_lshl_u32 v1, v1, v28, 4
	s_waitcnt lgkmcnt(0)
	s_barrier
	v_accvgpr_write_b32 a50, v1
	s_movk_i32 s0, 0x55
	v_cmp_gt_u16_e64 s[2:3], s0, v218
	s_waitcnt vmcnt(5)
	v_mul_f64 v[26:27], v[12:13], v[50:51]
	v_mul_f64 v[78:79], v[10:11], v[50:51]
	v_fma_f64 v[10:11], v[10:11], v[48:49], -v[26:27]
	v_fmac_f64_e32 v[78:79], v[12:13], v[48:49]
	s_waitcnt vmcnt(4)
	v_mul_f64 v[80:81], v[16:17], v[58:59]
	v_mul_f64 v[82:83], v[14:15], v[58:59]
	v_add_f64 v[10:11], v[2:3], -v[10:11]
	v_fma_f64 v[14:15], v[14:15], v[56:57], -v[80:81]
	v_fmac_f64_e32 v[82:83], v[16:17], v[56:57]
	v_fma_f64 v[2:3], v[2:3], 2.0, -v[10:11]
	v_add_f64 v[14:15], v[6:7], -v[14:15]
	v_add_f64 v[16:17], v[8:9], -v[82:83]
	v_fma_f64 v[6:7], v[6:7], 2.0, -v[14:15]
	s_waitcnt vmcnt(3)
	v_mul_f64 v[92:93], v[38:39], v[104:105]
	s_waitcnt vmcnt(2)
	v_mul_f64 v[98:99], v[40:41], v[54:55]
	v_mul_f64 v[96:97], v[42:43], v[54:55]
	v_fmac_f64_e32 v[98:99], v[42:43], v[52:53]
	v_mul_f64 v[94:95], v[36:37], v[104:105]
	v_fma_f64 v[26:27], v[36:37], v[102:103], -v[92:93]
	v_fmac_f64_e32 v[94:95], v[38:39], v[102:103]
	v_fma_f64 v[8:9], v[8:9], 2.0, -v[16:17]
	s_waitcnt vmcnt(1)
	v_mul_f64 v[100:101], v[72:73], v[108:109]
	v_fma_f64 v[42:43], v[70:71], v[106:107], -v[100:101]
	v_mul_f64 v[70:71], v[70:71], v[108:109]
	v_fmac_f64_e32 v[70:71], v[72:73], v[106:107]
	v_add_f64 v[36:37], v[18:19], -v[26:27]
	v_add_f64 v[38:39], v[20:21], -v[94:95]
	v_fma_f64 v[40:41], v[40:41], v[52:53], -v[96:97]
	s_waitcnt vmcnt(0)
	v_mul_f64 v[12:13], v[76:77], v[112:113]
	v_fma_f64 v[72:73], v[74:75], v[110:111], -v[12:13]
	v_add_f64 v[12:13], v[4:5], -v[78:79]
	v_fma_f64 v[4:5], v[4:5], 2.0, -v[12:13]
	ds_write_b128 v1, v[2:5]
	ds_write_b128 v1, v[10:13] offset:272
	v_mul_u32_u24_e32 v1, 34, v29
	v_add_lshl_u32 v1, v1, v30, 4
	ds_write_b128 v1, v[6:9]
	v_accvgpr_write_b32 a51, v1
	ds_write_b128 v1, v[14:17] offset:272
	v_mad_legacy_u16 v1, v31, 34, v32
	v_fma_f64 v[18:19], v[18:19], 2.0, -v[36:37]
	v_fma_f64 v[20:21], v[20:21], 2.0, -v[38:39]
	v_lshlrev_b32_e32 v1, 4, v1
	v_add_f64 v[92:93], v[22:23], -v[40:41]
	v_add_f64 v[94:95], v[24:25], -v[98:99]
	ds_write_b128 v1, v[18:21]
	v_accvgpr_write_b32 a52, v1
	ds_write_b128 v1, v[36:39] offset:272
	v_mad_legacy_u16 v1, v33, 34, v34
	v_accvgpr_write_b32 a38, v102
	v_fma_f64 v[22:23], v[22:23], 2.0, -v[92:93]
	v_fma_f64 v[24:25], v[24:25], 2.0, -v[94:95]
	v_lshlrev_b32_e32 v1, 4, v1
	v_accvgpr_write_b32 a39, v103
	v_accvgpr_write_b32 a40, v104
	;; [unrolled: 1-line block ×3, first 2 shown]
	v_mul_f64 v[74:75], v[74:75], v[112:113]
	v_add_f64 v[100:101], v[62:63], -v[42:43]
	v_add_f64 v[102:103], v[64:65], -v[70:71]
	ds_write_b128 v1, v[22:25]
	v_accvgpr_write_b32 a53, v1
	ds_write_b128 v1, v[92:95] offset:272
	v_mad_legacy_u16 v1, v35, 34, v44
	v_accvgpr_write_b32 a46, v110
	v_fmac_f64_e32 v[74:75], v[76:77], v[110:111]
	v_fma_f64 v[96:97], v[62:63], 2.0, -v[100:101]
	v_fma_f64 v[98:99], v[64:65], 2.0, -v[102:103]
	v_lshlrev_b32_e32 v1, 4, v1
	v_accvgpr_write_b32 a42, v106
	v_accvgpr_write_b32 a47, v111
	;; [unrolled: 1-line block ×4, first 2 shown]
	v_add_f64 v[112:113], v[66:67], -v[72:73]
	v_add_f64 v[114:115], v[68:69], -v[74:75]
	ds_write_b128 v1, v[96:99]
	v_accvgpr_write_b32 a54, v1
	ds_write_b128 v1, v[100:103] offset:272
	v_mad_legacy_u16 v1, v45, 34, v46
	v_accvgpr_write_b32 a43, v107
	v_accvgpr_write_b32 a44, v108
	;; [unrolled: 1-line block ×3, first 2 shown]
	v_fma_f64 v[108:109], v[66:67], 2.0, -v[112:113]
	v_fma_f64 v[110:111], v[68:69], 2.0, -v[114:115]
	v_lshlrev_b32_e32 v61, 4, v1
	ds_write_b128 v61, v[108:111]
	ds_write_b128 v61, v[112:115] offset:272
	s_waitcnt lgkmcnt(0)
	s_barrier
	ds_read_b128 v[104:107], v60
	ds_read_b128 v[136:139], v60 offset:3264
	ds_read_b128 v[132:135], v60 offset:6528
	;; [unrolled: 1-line block ×6, first 2 shown]
	v_accvgpr_write_b32 a22, v48
	v_accvgpr_write_b32 a34, v52
	v_accvgpr_write_b32 a23, v49
	v_accvgpr_write_b32 a24, v50
	v_accvgpr_write_b32 a25, v51
	v_accvgpr_write_b32 a35, v53
	v_accvgpr_write_b32 a36, v54
	v_accvgpr_write_b32 a37, v55
	s_and_saveexec_b64 s[0:1], s[2:3]
	s_cbranch_execz .LBB0_9
; %bb.8:
	ds_read_b128 v[92:95], v60 offset:1904
	ds_read_b128 v[96:99], v60 offset:5168
	;; [unrolled: 1-line block ×7, first 2 shown]
.LBB0_9:
	s_or_b64 exec, exec, s[0:1]
	v_lshrrev_b16_e32 v219, 13, v0
	v_mul_lo_u16_sdwa v4, v218, s16 dst_sel:DWORD dst_unused:UNUSED_PAD src0_sel:BYTE_0 src1_sel:DWORD
	v_mul_lo_u16_e32 v0, 34, v219
	v_lshrrev_b16_e32 v28, 13, v4
	v_sub_u16_e32 v0, v140, v0
	v_mul_lo_u16_e32 v4, 34, v28
	s_movk_i32 s17, 0x60
	v_mov_b64_e32 v[2:3], s[6:7]
	v_and_b32_e32 v221, 0xff, v0
	v_sub_u16_e32 v4, v218, v4
	v_mad_u64_u32 v[0:1], s[0:1], v221, s17, v[2:3]
	v_and_b32_e32 v29, 0xff, v4
	global_load_dwordx4 v[30:33], v[0:1], off offset:288
	global_load_dwordx4 v[52:55], v[0:1], off offset:272
	;; [unrolled: 1-line block ×6, first 2 shown]
	v_mad_u64_u32 v[0:1], s[0:1], v29, s17, v[2:3]
	global_load_dwordx4 v[80:83], v[0:1], off offset:272
	global_load_dwordx4 v[76:79], v[0:1], off offset:288
	;; [unrolled: 1-line block ×6, first 2 shown]
	s_mov_b32 s22, 0xe976ee23
	s_mov_b32 s0, 0x36b3c0b5
	;; [unrolled: 1-line block ×20, first 2 shown]
	v_mul_u32_u24_e32 v28, 0xee, v28
	v_add_lshl_u32 v28, v28, v29, 4
	v_accvgpr_write_b32 a55, v28
	s_waitcnt lgkmcnt(0)
	s_barrier
	s_waitcnt vmcnt(11)
	v_mul_f64 v[4:5], v[102:103], v[32:33]
	s_waitcnt vmcnt(5)
	v_mul_f64 v[24:25], v[138:139], v[82:83]
	v_mul_f64 v[22:23], v[84:85], v[64:65]
	;; [unrolled: 1-line block ×3, first 2 shown]
	s_waitcnt vmcnt(4)
	v_mul_f64 v[36:37], v[134:135], v[78:79]
	s_waitcnt vmcnt(1)
	v_mul_f64 v[146:147], v[122:123], v[160:161]
	;; [unrolled: 2-line block ×3, first 2 shown]
	v_mul_f64 v[18:19], v[88:89], v[68:69]
	v_mul_f64 v[20:21], v[86:87], v[64:65]
	;; [unrolled: 1-line block ×10, first 2 shown]
	v_fma_f64 v[16:17], v[88:89], v[66:67], -v[16:17]
	v_fmac_f64_e32 v[22:23], v[86:87], v[62:63]
	v_fma_f64 v[24:25], v[136:137], v[80:81], -v[24:25]
	v_fma_f64 v[36:37], v[132:133], v[76:77], -v[36:37]
	;; [unrolled: 1-line block ×4, first 2 shown]
	v_mul_f64 v[0:1], v[98:99], v[54:55]
	v_mul_f64 v[2:3], v[96:97], v[54:55]
	v_fmac_f64_e32 v[18:19], v[90:91], v[66:67]
	v_fma_f64 v[20:21], v[84:85], v[62:63], -v[20:21]
	v_fmac_f64_e32 v[26:27], v[138:139], v[80:81]
	v_fmac_f64_e32 v[38:39], v[134:135], v[76:77]
	v_fma_f64 v[40:41], v[128:129], v[72:73], -v[40:41]
	v_fmac_f64_e32 v[42:43], v[130:131], v[72:73]
	v_fma_f64 v[84:85], v[124:125], v[162:163], -v[142:143]
	v_fmac_f64_e32 v[144:145], v[126:127], v[162:163]
	v_fmac_f64_e32 v[148:149], v[122:123], v[158:159]
	;; [unrolled: 1-line block ×3, first 2 shown]
	v_add_f64 v[90:91], v[24:25], v[88:89]
	v_add_f64 v[24:25], v[24:25], -v[88:89]
	v_add_f64 v[88:89], v[36:37], v[86:87]
	v_mul_f64 v[6:7], v[100:101], v[32:33]
	v_mul_f64 v[10:11], v[108:109], v[50:51]
	;; [unrolled: 1-line block ×3, first 2 shown]
	v_fma_f64 v[0:1], v[96:97], v[52:53], -v[0:1]
	v_fmac_f64_e32 v[2:3], v[98:99], v[52:53]
	v_fma_f64 v[4:5], v[100:101], v[30:31], -v[4:5]
	v_add_f64 v[96:97], v[26:27], v[152:153]
	v_add_f64 v[98:99], v[38:39], v[148:149]
	v_add_f64 v[36:37], v[36:37], -v[86:87]
	v_add_f64 v[86:87], v[40:41], v[84:85]
	v_add_f64 v[100:101], v[42:43], v[144:145]
	v_add_f64 v[40:41], v[84:85], -v[40:41]
	v_add_f64 v[84:85], v[88:89], v[90:91]
	v_mul_f64 v[8:9], v[110:111], v[50:51]
	v_mul_f64 v[14:15], v[112:113], v[46:47]
	v_fmac_f64_e32 v[6:7], v[102:103], v[30:31]
	v_fmac_f64_e32 v[10:11], v[110:111], v[48:49]
	v_fma_f64 v[12:13], v[112:113], v[44:45], -v[12:13]
	v_add_f64 v[38:39], v[38:39], -v[148:149]
	v_add_f64 v[42:43], v[144:145], -v[42:43]
	v_add_f64 v[102:103], v[98:99], v[96:97]
	v_add_f64 v[110:111], v[98:99], -v[96:97]
	v_add_f64 v[112:113], v[96:97], -v[100:101]
	v_add_f64 v[96:97], v[40:41], v[36:37]
	v_add_f64 v[84:85], v[86:87], v[84:85]
	v_fma_f64 v[8:9], v[108:109], v[48:49], -v[8:9]
	v_fmac_f64_e32 v[14:15], v[114:115], v[44:45]
	v_add_f64 v[26:27], v[26:27], -v[152:153]
	v_add_f64 v[108:109], v[88:89], -v[90:91]
	;; [unrolled: 1-line block ×5, first 2 shown]
	v_add_f64 v[98:99], v[42:43], v[38:39]
	v_add_f64 v[116:117], v[40:41], -v[36:37]
	v_add_f64 v[40:41], v[24:25], -v[40:41]
	;; [unrolled: 1-line block ×3, first 2 shown]
	v_add_f64 v[86:87], v[100:101], v[102:103]
	v_add_f64 v[24:25], v[96:97], v[24:25]
	;; [unrolled: 1-line block ×3, first 2 shown]
	v_add_f64 v[118:119], v[42:43], -v[38:39]
	v_add_f64 v[42:43], v[26:27], -v[42:43]
	;; [unrolled: 1-line block ×3, first 2 shown]
	v_add_f64 v[26:27], v[98:99], v[26:27]
	v_add_f64 v[98:99], v[106:107], v[86:87]
	v_mul_f64 v[122:123], v[116:117], s[22:23]
	v_mov_b64_e32 v[116:117], v[96:97]
	v_mul_f64 v[102:103], v[88:89], s[0:1]
	v_mul_f64 v[104:105], v[114:115], s[0:1]
	;; [unrolled: 1-line block ×3, first 2 shown]
	v_fmac_f64_e32 v[116:117], s[26:27], v[84:85]
	v_mov_b64_e32 v[84:85], v[98:99]
	v_mul_f64 v[90:91], v[90:91], s[20:21]
	v_mul_f64 v[100:101], v[112:113], s[20:21]
	;; [unrolled: 1-line block ×4, first 2 shown]
	v_fmac_f64_e32 v[84:85], s[26:27], v[86:87]
	v_fma_f64 v[86:87], v[108:109], s[16:17], -v[102:103]
	v_fma_f64 v[102:103], v[110:111], s[16:17], -v[104:105]
	;; [unrolled: 1-line block ×5, first 2 shown]
	v_fmac_f64_e32 v[90:91], s[0:1], v[88:89]
	v_fma_f64 v[88:89], v[110:111], s[28:29], -v[100:101]
	v_fmac_f64_e32 v[100:101], s[0:1], v[114:115]
	v_fmac_f64_e32 v[122:123], s[30:31], v[40:41]
	;; [unrolled: 1-line block ×3, first 2 shown]
	v_fma_f64 v[40:41], v[40:41], s[34:35], -v[106:107]
	v_fma_f64 v[42:43], v[42:43], s[34:35], -v[112:113]
	v_add_f64 v[86:87], v[86:87], v[116:117]
	v_add_f64 v[114:115], v[102:103], v[84:85]
	v_fmac_f64_e32 v[36:37], s[18:19], v[24:25]
	v_fmac_f64_e32 v[38:39], s[18:19], v[26:27]
	v_add_f64 v[90:91], v[90:91], v[116:117]
	v_add_f64 v[124:125], v[100:101], v[84:85]
	;; [unrolled: 1-line block ×4, first 2 shown]
	v_fmac_f64_e32 v[122:123], s[18:19], v[24:25]
	v_fmac_f64_e32 v[120:121], s[18:19], v[26:27]
	;; [unrolled: 1-line block ×4, first 2 shown]
	v_add_f64 v[108:109], v[86:87], -v[38:39]
	v_add_f64 v[110:111], v[36:37], v[114:115]
	v_add_f64 v[112:113], v[38:39], v[86:87]
	v_add_f64 v[114:115], v[114:115], -v[36:37]
	v_add_f64 v[24:25], v[0:1], v[20:21]
	v_add_f64 v[26:27], v[2:3], v[22:23]
	;; [unrolled: 1-line block ×5, first 2 shown]
	v_add_f64 v[106:107], v[84:85], -v[40:41]
	v_add_f64 v[116:117], v[116:117], -v[42:43]
	v_add_f64 v[118:119], v[40:41], v[84:85]
	v_add_f64 v[20:21], v[0:1], -v[20:21]
	v_add_f64 v[22:23], v[2:3], -v[22:23]
	;; [unrolled: 1-line block ×4, first 2 shown]
	v_add_f64 v[16:17], v[8:9], v[12:13]
	v_add_f64 v[18:19], v[10:11], v[14:15]
	v_add_f64 v[8:9], v[12:13], -v[8:9]
	v_add_f64 v[14:15], v[14:15], -v[10:11]
	v_add_f64 v[40:41], v[36:37], v[24:25]
	v_add_f64 v[42:43], v[38:39], v[26:27]
	;; [unrolled: 1-line block ×3, first 2 shown]
	v_add_f64 v[102:103], v[124:125], -v[122:123]
	v_add_f64 v[120:121], v[90:91], -v[120:121]
	v_add_f64 v[122:123], v[122:123], v[124:125]
	v_add_f64 v[0:1], v[36:37], -v[24:25]
	v_add_f64 v[2:3], v[38:39], -v[26:27]
	;; [unrolled: 1-line block ×6, first 2 shown]
	v_add_f64 v[36:37], v[8:9], v[4:5]
	v_add_f64 v[38:39], v[14:15], v[6:7]
	v_add_f64 v[88:89], v[8:9], -v[4:5]
	v_add_f64 v[90:91], v[14:15], -v[6:7]
	v_add_f64 v[4:5], v[4:5], -v[20:21]
	v_add_f64 v[6:7], v[6:7], -v[22:23]
	v_add_f64 v[124:125], v[16:17], v[40:41]
	v_add_f64 v[18:19], v[18:19], v[42:43]
	v_add_f64 v[8:9], v[20:21], -v[8:9]
	v_add_f64 v[14:15], v[22:23], -v[14:15]
	v_add_f64 v[36:37], v[36:37], v[20:21]
	v_add_f64 v[84:85], v[92:93], v[124:125]
	;; [unrolled: 1-line block ×3, first 2 shown]
	v_mul_f64 v[24:25], v[24:25], s[20:21]
	v_mul_f64 v[42:43], v[26:27], s[20:21]
	;; [unrolled: 1-line block ×6, first 2 shown]
	v_add_f64 v[38:39], v[38:39], v[22:23]
	v_fma_f64 v[26:27], s[26:27], v[124:125], v[84:85]
	v_fma_f64 v[90:91], s[26:27], v[18:19], v[86:87]
	v_fma_f64 v[92:93], v[0:1], s[28:29], -v[24:25]
	v_fmac_f64_e32 v[24:25], s[0:1], v[10:11]
	v_fma_f64 v[94:95], v[2:3], s[28:29], -v[42:43]
	v_fmac_f64_e32 v[42:43], s[0:1], v[12:13]
	v_fma_f64 v[6:7], s[30:31], v[8:9], v[40:41]
	v_fma_f64 v[4:5], s[30:31], v[14:15], v[16:17]
	v_fma_f64 v[22:23], v[8:9], s[34:35], -v[88:89]
	v_fma_f64 v[18:19], v[14:15], s[34:35], -v[20:21]
	v_accvgpr_write_b32 a14, v52
	v_accvgpr_write_b32 a2, v30
	v_accvgpr_write_b32 a10, v48
	v_accvgpr_write_b32 a6, v44
	v_accvgpr_write_b32 a30, v66
	v_accvgpr_write_b32 a26, v62
	v_accvgpr_write_b32 a64, v162
	v_accvgpr_write_b32 a60, v158
	v_accvgpr_write_b32 a56, v154
	v_add_f64 v[8:9], v[24:25], v[26:27]
	v_add_f64 v[14:15], v[42:43], v[90:91]
	;; [unrolled: 1-line block ×4, first 2 shown]
	v_fmac_f64_e32 v[6:7], s[18:19], v[36:37]
	v_fmac_f64_e32 v[4:5], s[18:19], v[38:39]
	;; [unrolled: 1-line block ×4, first 2 shown]
	v_accvgpr_write_b32 a15, v53
	v_accvgpr_write_b32 a16, v54
	;; [unrolled: 1-line block ×27, first 2 shown]
	v_add_f64 v[124:125], v[24:25], -v[18:19]
	v_add_f64 v[126:127], v[22:23], v[42:43]
	v_add_f64 v[128:129], v[8:9], -v[4:5]
	v_add_f64 v[130:131], v[6:7], v[14:15]
	ds_write_b128 v28, v[96:99]
	ds_write_b128 v28, v[100:103] offset:544
	ds_write_b128 v28, v[104:107] offset:1088
	;; [unrolled: 1-line block ×6, first 2 shown]
	s_and_saveexec_b64 s[20:21], s[2:3]
	s_cbranch_execz .LBB0_11
; %bb.10:
	v_mul_f64 v[10:11], v[10:11], s[0:1]
	v_mul_f64 v[12:13], v[12:13], s[0:1]
	s_movk_i32 s0, 0xf1
	v_mul_f64 v[0:1], v[0:1], s[16:17]
	v_mul_f64 v[2:3], v[2:3], s[16:17]
	v_add_f64 v[4:5], v[4:5], v[8:9]
	v_mul_lo_u16_sdwa v8, v140, s0 dst_sel:DWORD dst_unused:UNUSED_PAD src0_sel:BYTE_0 src1_sel:DWORD
	v_add_f64 v[2:3], v[2:3], -v[12:13]
	v_add_f64 v[0:1], v[0:1], -v[10:11]
	v_lshrrev_b16_e32 v8, 13, v8
	v_mul_f64 v[36:37], v[36:37], s[18:19]
	v_mul_f64 v[38:39], v[38:39], s[18:19]
	v_add_f64 v[12:13], v[2:3], v[90:91]
	v_add_f64 v[2:3], v[88:89], -v[40:41]
	v_add_f64 v[10:11], v[0:1], v[26:27]
	v_add_f64 v[0:1], v[20:21], -v[16:17]
	v_mul_u32_u24_e32 v8, 0xee, v8
	v_add_f64 v[36:37], v[36:37], v[2:3]
	v_add_f64 v[16:17], v[38:39], v[0:1]
	v_add_lshl_u32 v8, v8, v221, 4
	v_add_f64 v[2:3], v[12:13], -v[36:37]
	v_add_f64 v[0:1], v[16:17], v[10:11]
	v_add_f64 v[12:13], v[36:37], v[12:13]
	v_add_f64 v[10:11], v[10:11], -v[16:17]
	v_add_f64 v[20:21], v[42:43], -v[22:23]
	v_add_f64 v[18:19], v[18:19], v[24:25]
	v_add_f64 v[6:7], v[14:15], -v[6:7]
	ds_write_b128 v8, v[84:87]
	ds_write_b128 v8, v[4:7] offset:544
	ds_write_b128 v8, v[18:21] offset:1088
	;; [unrolled: 1-line block ×6, first 2 shown]
.LBB0_11:
	s_or_b64 exec, exec, s[20:21]
	s_movk_i32 s0, 0x50
	v_mov_b64_e32 v[0:1], s[6:7]
	v_mad_u64_u32 v[0:1], s[0:1], v218, s0, v[0:1]
	s_waitcnt lgkmcnt(0)
	s_barrier
	global_load_dwordx4 v[96:99], v[0:1], off offset:3536
	global_load_dwordx4 v[92:95], v[0:1], off offset:3552
	;; [unrolled: 1-line block ×5, first 2 shown]
	s_mov_b64 s[0:1], 0x2530
	v_lshl_add_u64 v[0:1], v[0:1], 0, s[0:1]
	global_load_dwordx4 v[116:119], v[0:1], off offset:3536
	global_load_dwordx4 v[112:115], v[0:1], off offset:3552
	;; [unrolled: 1-line block ×5, first 2 shown]
	ds_read_b128 v[0:3], v60
	ds_read_b128 v[4:7], v60 offset:1904
	ds_read_b128 v[8:11], v60 offset:3808
	ds_read_b128 v[12:15], v60 offset:5712
	ds_read_b128 v[16:19], v60 offset:7616
	ds_read_b128 v[20:23], v60 offset:9520
	ds_read_b128 v[24:27], v60 offset:11424
	ds_read_b128 v[36:39], v60 offset:13328
	ds_read_b128 v[40:43], v60 offset:15232
	ds_read_b128 v[132:135], v60 offset:17136
	ds_read_b128 v[136:139], v60 offset:19040
	ds_read_b128 v[140:143], v60 offset:20944
	s_mov_b32 s6, 0xe8584caa
	s_mov_b32 s7, 0x3febb67a
	;; [unrolled: 1-line block ×4, first 2 shown]
	s_waitcnt vmcnt(9) lgkmcnt(9)
	v_mul_f64 v[146:147], v[8:9], v[98:99]
	s_waitcnt vmcnt(8) lgkmcnt(7)
	v_mul_f64 v[148:149], v[18:19], v[94:95]
	v_mul_f64 v[150:151], v[16:17], v[94:95]
	s_waitcnt vmcnt(7) lgkmcnt(5)
	v_mul_f64 v[152:153], v[26:27], v[90:91]
	s_waitcnt vmcnt(6) lgkmcnt(3)
	;; [unrolled: 2-line block ×3, first 2 shown]
	v_mul_f64 v[160:161], v[138:139], v[102:103]
	v_mul_f64 v[144:145], v[10:11], v[98:99]
	;; [unrolled: 1-line block ×4, first 2 shown]
	v_fmac_f64_e32 v[146:147], v[10:11], v[96:97]
	v_fma_f64 v[10:11], v[16:17], v[92:93], -v[148:149]
	v_fmac_f64_e32 v[150:151], v[18:19], v[92:93]
	v_fma_f64 v[16:17], v[24:25], v[88:89], -v[152:153]
	v_fma_f64 v[18:19], v[40:41], v[84:85], -v[156:157]
	;; [unrolled: 1-line block ×3, first 2 shown]
	s_waitcnt vmcnt(2)
	v_mul_f64 v[160:161], v[36:37], v[110:111]
	v_mul_f64 v[162:163], v[136:137], v[102:103]
	v_fmac_f64_e32 v[158:159], v[42:43], v[84:85]
	v_mul_f64 v[40:41], v[12:13], v[118:119]
	v_mul_f64 v[42:43], v[22:23], v[114:115]
	;; [unrolled: 1-line block ×3, first 2 shown]
	s_waitcnt vmcnt(1)
	v_mul_f64 v[164:165], v[132:133], v[106:107]
	v_fmac_f64_e32 v[160:161], v[38:39], v[108:109]
	v_add_f64 v[38:39], v[10:11], v[18:19]
	v_fmac_f64_e32 v[154:155], v[26:27], v[88:89]
	v_fmac_f64_e32 v[162:163], v[138:139], v[100:101]
	v_mul_f64 v[26:27], v[14:15], v[118:119]
	v_mul_f64 v[156:157], v[20:21], v[114:115]
	;; [unrolled: 1-line block ×3, first 2 shown]
	v_fmac_f64_e32 v[40:41], v[14:15], v[116:117]
	v_fma_f64 v[14:15], v[20:21], v[112:113], -v[42:43]
	v_fma_f64 v[20:21], v[36:37], v[108:109], -v[136:137]
	v_fmac_f64_e32 v[164:165], v[134:135], v[104:105]
	v_add_f64 v[36:37], v[0:1], v[10:11]
	v_add_f64 v[42:43], v[150:151], -v[158:159]
	v_add_f64 v[134:135], v[150:151], v[158:159]
	v_fmac_f64_e32 v[0:1], -0.5, v[38:39]
	v_fma_f64 v[8:9], v[8:9], v[96:97], -v[144:145]
	v_fmac_f64_e32 v[156:157], v[22:23], v[112:113]
	v_fma_f64 v[22:23], v[132:133], v[104:105], -v[138:139]
	v_add_f64 v[132:133], v[2:3], v[150:151]
	v_fmac_f64_e32 v[2:3], -0.5, v[134:135]
	v_fma_f64 v[148:149], s[6:7], v[42:43], v[0:1]
	v_fmac_f64_e32 v[0:1], s[0:1], v[42:43]
	v_add_f64 v[10:11], v[10:11], -v[18:19]
	v_add_f64 v[42:43], v[16:17], v[24:25]
	v_add_f64 v[36:37], v[36:37], v[18:19]
	;; [unrolled: 1-line block ×3, first 2 shown]
	v_fma_f64 v[18:19], s[0:1], v[10:11], v[2:3]
	v_fmac_f64_e32 v[2:3], s[6:7], v[10:11]
	v_add_f64 v[10:11], v[8:9], v[16:17]
	v_fmac_f64_e32 v[8:9], -0.5, v[42:43]
	v_add_f64 v[42:43], v[154:155], -v[162:163]
	v_add_f64 v[132:133], v[154:155], v[162:163]
	v_fma_f64 v[138:139], s[6:7], v[42:43], v[8:9]
	v_fmac_f64_e32 v[8:9], s[0:1], v[42:43]
	v_add_f64 v[42:43], v[146:147], v[154:155]
	v_fmac_f64_e32 v[146:147], -0.5, v[132:133]
	v_add_f64 v[16:17], v[16:17], -v[24:25]
	v_add_f64 v[10:11], v[10:11], v[24:25]
	v_fma_f64 v[24:25], s[0:1], v[16:17], v[146:147]
	v_fmac_f64_e32 v[146:147], s[6:7], v[16:17]
	v_mul_f64 v[154:155], v[138:139], s[0:1]
	v_mul_f64 v[16:17], v[24:25], s[6:7]
	v_mul_f64 v[150:151], v[8:9], -0.5
	v_fmac_f64_e32 v[154:155], 0.5, v[24:25]
	v_mul_f64 v[24:25], v[146:147], -0.5
	s_waitcnt vmcnt(0) lgkmcnt(0)
	v_mul_f64 v[144:145], v[142:143], v[122:123]
	v_mul_f64 v[166:167], v[140:141], v[122:123]
	v_fmac_f64_e32 v[150:151], s[6:7], v[146:147]
	v_fmac_f64_e32 v[24:25], s[0:1], v[8:9]
	v_fma_f64 v[12:13], v[12:13], v[116:117], -v[26:27]
	v_fma_f64 v[26:27], v[140:141], v[120:121], -v[144:145]
	v_fmac_f64_e32 v[166:167], v[142:143], v[120:121]
	v_fmac_f64_e32 v[16:17], 0.5, v[138:139]
	v_add_f64 v[140:141], v[0:1], v[150:151]
	v_add_f64 v[138:139], v[18:19], v[154:155]
	;; [unrolled: 1-line block ×3, first 2 shown]
	v_add_f64 v[152:153], v[0:1], -v[150:151]
	v_add_f64 v[150:151], v[18:19], -v[154:155]
	;; [unrolled: 1-line block ×3, first 2 shown]
	v_add_f64 v[2:3], v[14:15], v[22:23]
	v_add_f64 v[132:133], v[36:37], v[10:11]
	v_add_f64 v[144:145], v[36:37], -v[10:11]
	v_add_f64 v[0:1], v[4:5], v[14:15]
	v_fmac_f64_e32 v[4:5], -0.5, v[2:3]
	v_add_f64 v[2:3], v[156:157], -v[164:165]
	v_add_f64 v[10:11], v[156:157], v[164:165]
	v_add_f64 v[136:137], v[148:149], v[16:17]
	v_add_f64 v[148:149], v[148:149], -v[16:17]
	v_fma_f64 v[8:9], s[6:7], v[2:3], v[4:5]
	v_fmac_f64_e32 v[4:5], s[0:1], v[2:3]
	v_add_f64 v[2:3], v[6:7], v[156:157]
	v_fmac_f64_e32 v[6:7], -0.5, v[10:11]
	v_add_f64 v[10:11], v[14:15], -v[22:23]
	v_add_f64 v[16:17], v[20:21], v[26:27]
	v_add_f64 v[0:1], v[0:1], v[22:23]
	v_fma_f64 v[14:15], s[0:1], v[10:11], v[6:7]
	v_fmac_f64_e32 v[6:7], s[6:7], v[10:11]
	v_add_f64 v[10:11], v[12:13], v[20:21]
	v_fmac_f64_e32 v[12:13], -0.5, v[16:17]
	v_add_f64 v[16:17], v[160:161], -v[166:167]
	v_add_f64 v[22:23], v[160:161], v[166:167]
	v_fma_f64 v[18:19], s[6:7], v[16:17], v[12:13]
	v_fmac_f64_e32 v[12:13], s[0:1], v[16:17]
	v_add_f64 v[16:17], v[40:41], v[160:161]
	v_fmac_f64_e32 v[40:41], -0.5, v[22:23]
	v_add_f64 v[20:21], v[20:21], -v[26:27]
	v_fma_f64 v[22:23], s[0:1], v[20:21], v[40:41]
	v_fmac_f64_e32 v[40:41], s[6:7], v[20:21]
	v_mul_f64 v[20:21], v[22:23], s[6:7]
	v_fmac_f64_e32 v[20:21], 0.5, v[18:19]
	v_mul_f64 v[18:19], v[18:19], s[0:1]
	v_mul_f64 v[24:25], v[12:13], -0.5
	v_fmac_f64_e32 v[18:19], 0.5, v[22:23]
	v_mul_f64 v[22:23], v[40:41], -0.5
	v_add_f64 v[42:43], v[42:43], v[162:163]
	v_add_f64 v[2:3], v[2:3], v[164:165]
	;; [unrolled: 1-line block ×4, first 2 shown]
	v_fmac_f64_e32 v[24:25], s[6:7], v[40:41]
	v_fmac_f64_e32 v[22:23], s[0:1], v[12:13]
	v_add_f64 v[134:135], v[38:39], v[42:43]
	v_add_f64 v[146:147], v[38:39], -v[42:43]
	v_add_f64 v[156:157], v[0:1], v[10:11]
	v_add_f64 v[160:161], v[8:9], v[20:21]
	;; [unrolled: 1-line block ×6, first 2 shown]
	v_add_f64 v[168:169], v[0:1], -v[10:11]
	v_add_f64 v[172:173], v[8:9], -v[20:21]
	;; [unrolled: 1-line block ×6, first 2 shown]
	ds_write_b128 v60, v[132:135]
	ds_write_b128 v60, v[136:139] offset:3808
	ds_write_b128 v60, v[140:143] offset:7616
	;; [unrolled: 1-line block ×11, first 2 shown]
	s_waitcnt lgkmcnt(0)
	s_barrier
	s_and_saveexec_b64 s[0:1], s[4:5]
	s_cbranch_execz .LBB0_13
; %bb.12:
	v_mov_b32_e32 v233, 0
	v_lshl_add_u64 v[12:13], s[12:13], 0, v[232:233]
	v_add_co_u32_e32 v4, vcc, 0x5000, v12
	ds_read_b128 v[0:3], v60
	s_nop 0
	v_addc_co_u32_e32 v5, vcc, 0, v13, vcc
	global_load_dwordx4 v[4:7], v[4:5], off offset:2368
	s_mov_b64 s[6:7], 0x5940
	v_lshl_add_u64 v[14:15], v[12:13], 0, s[6:7]
	s_movk_i32 s6, 0x6000
	s_waitcnt vmcnt(0) lgkmcnt(0)
	v_mul_f64 v[8:9], v[2:3], v[6:7]
	v_mul_f64 v[10:11], v[0:1], v[6:7]
	v_fma_f64 v[8:9], v[0:1], v[4:5], -v[8:9]
	v_fmac_f64_e32 v[10:11], v[2:3], v[4:5]
	global_load_dwordx4 v[4:7], v[14:15], off offset:1344
	ds_write_b128 v60, v[8:11]
	ds_read_b128 v[0:3], v232 offset:1344
	ds_read_b128 v[180:183], v232 offset:21504
	s_waitcnt vmcnt(0) lgkmcnt(1)
	v_mul_f64 v[8:9], v[2:3], v[6:7]
	v_mul_f64 v[10:11], v[0:1], v[6:7]
	v_fma_f64 v[8:9], v[0:1], v[4:5], -v[8:9]
	v_fmac_f64_e32 v[10:11], v[2:3], v[4:5]
	global_load_dwordx4 v[4:7], v[14:15], off offset:2688
	ds_read_b128 v[0:3], v232 offset:2688
	ds_write_b128 v232, v[8:11] offset:1344
	s_waitcnt vmcnt(0) lgkmcnt(1)
	v_mul_f64 v[8:9], v[2:3], v[6:7]
	v_mul_f64 v[10:11], v[0:1], v[6:7]
	v_fma_f64 v[8:9], v[0:1], v[4:5], -v[8:9]
	v_fmac_f64_e32 v[10:11], v[2:3], v[4:5]
	global_load_dwordx4 v[4:7], v[14:15], off offset:4032
	ds_read_b128 v[0:3], v232 offset:4032
	ds_write_b128 v232, v[8:11] offset:2688
	s_waitcnt vmcnt(0) lgkmcnt(1)
	v_mul_f64 v[8:9], v[2:3], v[6:7]
	v_mul_f64 v[10:11], v[0:1], v[6:7]
	v_fma_f64 v[8:9], v[0:1], v[4:5], -v[8:9]
	v_fmac_f64_e32 v[10:11], v[2:3], v[4:5]
	v_add_co_u32_e32 v4, vcc, s6, v12
	ds_read_b128 v[0:3], v232 offset:5376
	s_nop 0
	v_addc_co_u32_e32 v5, vcc, 0, v13, vcc
	global_load_dwordx4 v[4:7], v[4:5], off offset:3648
	s_movk_i32 s6, 0x7000
	v_add_co_u32_e32 v14, vcc, s6, v12
	ds_write_b128 v232, v[8:11] offset:4032
	s_nop 0
	v_addc_co_u32_e32 v15, vcc, 0, v13, vcc
	s_mov_b32 s6, 0x8000
	s_waitcnt vmcnt(0) lgkmcnt(1)
	v_mul_f64 v[8:9], v[2:3], v[6:7]
	v_mul_f64 v[10:11], v[0:1], v[6:7]
	v_fma_f64 v[8:9], v[0:1], v[4:5], -v[8:9]
	v_fmac_f64_e32 v[10:11], v[2:3], v[4:5]
	global_load_dwordx4 v[4:7], v[14:15], off offset:896
	ds_read_b128 v[0:3], v232 offset:6720
	ds_write_b128 v232, v[8:11] offset:5376
	s_waitcnt vmcnt(0) lgkmcnt(1)
	v_mul_f64 v[8:9], v[2:3], v[6:7]
	v_mul_f64 v[10:11], v[0:1], v[6:7]
	v_fma_f64 v[8:9], v[0:1], v[4:5], -v[8:9]
	v_fmac_f64_e32 v[10:11], v[2:3], v[4:5]
	global_load_dwordx4 v[4:7], v[14:15], off offset:2240
	ds_read_b128 v[0:3], v232 offset:8064
	ds_write_b128 v232, v[8:11] offset:6720
	s_waitcnt vmcnt(0) lgkmcnt(1)
	v_mul_f64 v[8:9], v[2:3], v[6:7]
	v_mul_f64 v[10:11], v[0:1], v[6:7]
	v_fma_f64 v[8:9], v[0:1], v[4:5], -v[8:9]
	v_fmac_f64_e32 v[10:11], v[2:3], v[4:5]
	global_load_dwordx4 v[4:7], v[14:15], off offset:3584
	ds_read_b128 v[0:3], v232 offset:9408
	v_add_co_u32_e32 v14, vcc, s6, v12
	ds_write_b128 v232, v[8:11] offset:8064
	s_nop 0
	v_addc_co_u32_e32 v15, vcc, 0, v13, vcc
	s_mov_b32 s6, 0x9000
	s_waitcnt vmcnt(0) lgkmcnt(1)
	v_mul_f64 v[8:9], v[2:3], v[6:7]
	v_mul_f64 v[10:11], v[0:1], v[6:7]
	v_fma_f64 v[8:9], v[0:1], v[4:5], -v[8:9]
	v_fmac_f64_e32 v[10:11], v[2:3], v[4:5]
	global_load_dwordx4 v[4:7], v[14:15], off offset:832
	ds_read_b128 v[0:3], v232 offset:10752
	ds_write_b128 v232, v[8:11] offset:9408
	s_waitcnt vmcnt(0) lgkmcnt(1)
	v_mul_f64 v[8:9], v[2:3], v[6:7]
	v_mul_f64 v[10:11], v[0:1], v[6:7]
	v_fma_f64 v[8:9], v[0:1], v[4:5], -v[8:9]
	v_fmac_f64_e32 v[10:11], v[2:3], v[4:5]
	global_load_dwordx4 v[4:7], v[14:15], off offset:2176
	ds_read_b128 v[0:3], v232 offset:12096
	ds_write_b128 v232, v[8:11] offset:10752
	s_waitcnt vmcnt(0) lgkmcnt(1)
	v_mul_f64 v[8:9], v[2:3], v[6:7]
	v_mul_f64 v[10:11], v[0:1], v[6:7]
	v_fma_f64 v[8:9], v[0:1], v[4:5], -v[8:9]
	v_fmac_f64_e32 v[10:11], v[2:3], v[4:5]
	global_load_dwordx4 v[4:7], v[14:15], off offset:3520
	ds_read_b128 v[0:3], v232 offset:13440
	v_add_co_u32_e32 v14, vcc, s6, v12
	ds_write_b128 v232, v[8:11] offset:12096
	s_nop 0
	v_addc_co_u32_e32 v15, vcc, 0, v13, vcc
	s_mov_b32 s6, 0xa000
	v_add_co_u32_e32 v12, vcc, s6, v12
	s_waitcnt vmcnt(0) lgkmcnt(1)
	v_mul_f64 v[8:9], v[2:3], v[6:7]
	v_mul_f64 v[10:11], v[0:1], v[6:7]
	v_fma_f64 v[8:9], v[0:1], v[4:5], -v[8:9]
	v_fmac_f64_e32 v[10:11], v[2:3], v[4:5]
	global_load_dwordx4 v[4:7], v[14:15], off offset:768
	ds_read_b128 v[0:3], v232 offset:14784
	ds_write_b128 v232, v[8:11] offset:13440
	v_addc_co_u32_e32 v13, vcc, 0, v13, vcc
	global_load_dwordx4 v[184:187], v[12:13], off offset:3392
	s_waitcnt vmcnt(1) lgkmcnt(1)
	v_mul_f64 v[8:9], v[2:3], v[6:7]
	v_mul_f64 v[10:11], v[0:1], v[6:7]
	v_fma_f64 v[8:9], v[0:1], v[4:5], -v[8:9]
	v_fmac_f64_e32 v[10:11], v[2:3], v[4:5]
	global_load_dwordx4 v[4:7], v[14:15], off offset:2112
	ds_read_b128 v[0:3], v232 offset:16128
	ds_write_b128 v232, v[8:11] offset:14784
	s_waitcnt vmcnt(0) lgkmcnt(1)
	v_mul_f64 v[8:9], v[2:3], v[6:7]
	v_mul_f64 v[10:11], v[0:1], v[6:7]
	v_fma_f64 v[8:9], v[0:1], v[4:5], -v[8:9]
	v_fmac_f64_e32 v[10:11], v[2:3], v[4:5]
	global_load_dwordx4 v[4:7], v[14:15], off offset:3456
	ds_read_b128 v[0:3], v232 offset:17472
	ds_write_b128 v232, v[8:11] offset:16128
	;; [unrolled: 8-line block ×4, first 2 shown]
	s_waitcnt vmcnt(0) lgkmcnt(1)
	v_mul_f64 v[8:9], v[2:3], v[6:7]
	v_mul_f64 v[10:11], v[0:1], v[6:7]
	v_fma_f64 v[8:9], v[0:1], v[4:5], -v[8:9]
	v_fmac_f64_e32 v[10:11], v[2:3], v[4:5]
	v_mul_f64 v[0:1], v[182:183], v[186:187]
	v_mul_f64 v[2:3], v[180:181], v[186:187]
	v_fma_f64 v[0:1], v[180:181], v[184:185], -v[0:1]
	v_fmac_f64_e32 v[2:3], v[182:183], v[184:185]
	ds_write_b128 v232, v[8:11] offset:20160
	ds_write_b128 v232, v[0:3] offset:21504
.LBB0_13:
	s_or_b64 exec, exec, s[0:1]
	s_waitcnt lgkmcnt(0)
	s_barrier
	s_and_saveexec_b64 s[0:1], s[4:5]
	s_cbranch_execz .LBB0_15
; %bb.14:
	ds_read_b128 v[132:135], v60
	ds_read_b128 v[136:139], v60 offset:1344
	ds_read_b128 v[140:143], v60 offset:2688
	;; [unrolled: 1-line block ×16, first 2 shown]
.LBB0_15:
	s_or_b64 exec, exec, s[0:1]
	s_mov_b32 s18, 0xeb564b22
	s_waitcnt lgkmcnt(0)
	v_add_f64 v[244:245], v[138:139], -v[212:213]
	s_mov_b32 s0, 0x3259b75e
	s_mov_b32 s19, 0xbfefdd0d
	;; [unrolled: 1-line block ×3, first 2 shown]
	v_add_f64 v[238:239], v[136:137], v[210:211]
	v_add_f64 v[240:241], v[138:139], v[212:213]
	s_mov_b32 s1, 0x3fb79ee6
	v_mul_f64 v[10:11], v[244:245], s[18:19]
	s_mov_b32 s22, 0x923c349f
	v_add_f64 v[252:253], v[142:143], -v[216:217]
	s_mov_b32 s16, 0x7faef3
	s_mov_b32 s29, 0xbfc7851a
	v_add_f64 v[248:249], v[136:137], -v[210:211]
	v_mul_f64 v[32:33], v[240:241], s[0:1]
	v_fma_f64 v[0:1], v[238:239], s[0:1], -v[10:11]
	s_mov_b32 s6, 0xc61f0d01
	s_mov_b32 s23, 0xbfeec746
	v_add_f64 v[242:243], v[140:141], v[214:215]
	v_add_f64 v[246:247], v[142:143], v[216:217]
	s_mov_b32 s17, 0xbfef7484
	v_mul_f64 v[34:35], v[252:253], s[28:29]
	s_mov_b32 s40, 0x4363dd80
	v_add_f64 v[0:1], v[132:133], v[0:1]
	v_fma_f64 v[2:3], s[18:19], v[248:249], v[32:33]
	s_mov_b32 s7, 0xbfd183b1
	v_mul_f64 v[46:47], v[244:245], s[22:23]
	v_add_f64 v[190:191], v[140:141], -v[214:215]
	v_mul_f64 v[44:45], v[246:247], s[16:17]
	v_fma_f64 v[8:9], v[242:243], s[16:17], -v[34:35]
	s_mov_b32 s20, 0x910ea3b9
	s_mov_b32 s41, 0x3fe0d888
	v_add_f64 v[2:3], v[134:135], v[2:3]
	v_mul_f64 v[64:65], v[240:241], s[6:7]
	v_fma_f64 v[4:5], v[238:239], s[6:7], -v[46:47]
	v_add_f64 v[0:1], v[8:9], v[0:1]
	v_fma_f64 v[8:9], s[28:29], v[190:191], v[44:45]
	s_mov_b32 s21, 0xbfeb34fa
	v_mul_f64 v[52:53], v[252:253], s[40:41]
	v_add_f64 v[4:5], v[132:133], v[4:5]
	v_fma_f64 v[6:7], s[22:23], v[248:249], v[64:65]
	v_add_f64 v[2:3], v[8:9], v[2:3]
	v_mul_f64 v[12:13], v[246:247], s[20:21]
	v_fma_f64 v[8:9], v[242:243], s[20:21], -v[52:53]
	v_add_f64 v[236:237], v[146:147], -v[226:227]
	s_mov_b32 s45, 0x3feec746
	s_mov_b32 s44, s22
	v_add_f64 v[6:7], v[134:135], v[6:7]
	v_add_f64 v[4:5], v[8:9], v[4:5]
	v_fma_f64 v[8:9], s[40:41], v[190:191], v[12:13]
	v_add_f64 v[250:251], v[144:145], v[224:225]
	v_add_f64 v[254:255], v[146:147], v[226:227]
	v_mul_f64 v[48:49], v[236:237], s[44:45]
	v_add_f64 v[6:7], v[8:9], v[6:7]
	v_add_f64 v[196:197], v[144:145], -v[224:225]
	v_mul_f64 v[50:51], v[254:255], s[6:7]
	v_fma_f64 v[8:9], v[250:251], s[6:7], -v[48:49]
	s_mov_b32 s52, 0x2a9d6da3
	v_add_f64 v[0:1], v[8:9], v[0:1]
	v_fma_f64 v[8:9], s[44:45], v[196:197], v[50:51]
	s_mov_b32 s53, 0x3fe58eea
	v_add_f64 v[2:3], v[8:9], v[2:3]
	s_mov_b32 s26, 0x75d4884
	v_mul_f64 v[8:9], v[236:237], s[52:53]
	v_accvgpr_write_b32 a99, v13
	s_mov_b32 s27, 0x3fe7a5f6
	v_accvgpr_write_b32 a93, v9
	s_mov_b32 s48, 0x5d8e7cdc
	v_accvgpr_write_b32 a98, v12
	v_mul_f64 v[12:13], v[254:255], s[26:27]
	v_accvgpr_write_b32 a92, v8
	v_fma_f64 v[8:9], v[250:251], s[26:27], -v[8:9]
	v_add_f64 v[198:199], v[150:151], -v[130:131]
	s_mov_b32 s30, 0x370991
	s_mov_b32 s49, 0x3fd71e95
	v_add_f64 v[4:5], v[8:9], v[4:5]
	v_fma_f64 v[8:9], s[52:53], v[196:197], v[12:13]
	v_add_f64 v[188:189], v[148:149], v[128:129]
	v_add_f64 v[192:193], v[150:151], v[130:131]
	s_mov_b32 s31, 0x3fedd6d0
	v_mul_f64 v[54:55], v[198:199], s[48:49]
	v_accvgpr_write_b32 a109, v13
	v_add_f64 v[8:9], v[8:9], v[6:7]
	v_add_f64 v[202:203], v[148:149], -v[128:129]
	v_mul_f64 v[66:67], v[192:193], s[30:31]
	v_fma_f64 v[6:7], v[188:189], s[30:31], -v[54:55]
	s_mov_b32 s36, 0x7c9e640b
	v_accvgpr_write_b32 a108, v12
	v_add_f64 v[12:13], v[6:7], v[0:1]
	v_fma_f64 v[0:1], s[48:49], v[202:203], v[66:67]
	s_mov_b32 s37, 0xbfeca52d
	v_add_f64 v[2:3], v[0:1], v[2:3]
	s_mov_b32 s34, 0x2b2883cd
	v_mul_f64 v[0:1], v[198:199], s[36:37]
	s_mov_b32 s35, 0x3fdc86fa
	v_mov_b64_e32 v[28:29], v[214:215]
	v_accvgpr_write_b32 a107, v1
	v_mov_b64_e32 v[30:31], v[216:217]
	v_mul_f64 v[214:215], v[192:193], s[34:35]
	v_accvgpr_write_b32 a106, v0
	v_fma_f64 v[0:1], v[188:189], s[34:35], -v[0:1]
	v_add_f64 v[4:5], v[0:1], v[4:5]
	v_fma_f64 v[0:1], s[36:37], v[202:203], v[214:215]
	v_add_f64 v[200:201], v[154:155], v[126:127]
	v_add_f64 v[16:17], v[154:155], -v[126:127]
	v_add_f64 v[8:9], v[0:1], v[8:9]
	v_add_f64 v[194:195], v[152:153], v[124:125]
	v_mul_f64 v[6:7], v[16:17], s[36:37]
	v_mul_f64 v[0:1], v[200:201], s[34:35]
	v_add_f64 v[22:23], v[152:153], -v[124:125]
	v_fma_f64 v[14:15], v[194:195], s[34:35], -v[6:7]
	v_accvgpr_write_b32 a95, v1
	v_add_f64 v[14:15], v[14:15], v[12:13]
	v_accvgpr_write_b32 a94, v0
	v_fma_f64 v[12:13], s[36:37], v[22:23], v[0:1]
	v_mul_f64 v[0:1], v[16:17], s[28:29]
	v_add_f64 v[18:19], v[12:13], v[2:3]
	v_mul_f64 v[228:229], v[200:201], s[16:17]
	v_fma_f64 v[2:3], v[194:195], s[16:17], -v[0:1]
	v_accvgpr_write_b32 a111, v1
	v_add_f64 v[24:25], v[2:3], v[4:5]
	v_fma_f64 v[2:3], s[28:29], v[22:23], v[228:229]
	v_add_f64 v[12:13], v[158:159], v[178:179]
	v_add_f64 v[20:21], v[158:159], -v[178:179]
	s_mov_b32 s42, s40
	v_accvgpr_write_b32 a110, v0
	v_add_f64 v[8:9], v[2:3], v[8:9]
	v_add_f64 v[234:235], v[156:157], v[176:177]
	v_mul_f64 v[0:1], v[20:21], s[42:43]
	v_mul_f64 v[2:3], v[12:13], s[20:21]
	v_add_f64 v[36:37], v[156:157], -v[176:177]
	v_fma_f64 v[26:27], v[234:235], s[20:21], -v[0:1]
	v_accvgpr_write_b32 a105, v3
	v_add_f64 v[38:39], v[26:27], v[14:15]
	v_accvgpr_write_b32 a104, v2
	v_fma_f64 v[14:15], s[42:43], v[36:37], v[2:3]
	s_mov_b32 s61, 0x3fefdd0d
	s_mov_b32 s60, s18
	v_mov_b64_e32 v[2:3], v[210:211]
	v_mov_b64_e32 v[4:5], v[212:213]
	v_mul_f64 v[212:213], v[20:21], s[60:61]
	v_add_f64 v[42:43], v[14:15], v[18:19]
	v_mul_f64 v[206:207], v[12:13], s[0:1]
	v_fma_f64 v[14:15], v[234:235], s[0:1], -v[212:213]
	s_mov_b32 s56, 0x6c9a05f6
	v_add_f64 v[24:25], v[14:15], v[24:25]
	v_fma_f64 v[14:15], s[60:61], v[36:37], v[206:207]
	v_add_f64 v[26:27], v[162:163], -v[174:175]
	s_mov_b32 s38, 0x6ed5f1bb
	s_mov_b32 s57, 0x3fe9895b
	v_add_f64 v[180:181], v[14:15], v[8:9]
	v_add_f64 v[14:15], v[160:161], v[172:173]
	;; [unrolled: 1-line block ×3, first 2 shown]
	s_mov_b32 s39, 0xbfe348c8
	v_mul_f64 v[8:9], v[26:27], s[56:57]
	v_mov_b64_e32 v[68:69], v[224:225]
	v_add_f64 v[40:41], v[160:161], -v[172:173]
	v_mov_b64_e32 v[70:71], v[226:227]
	v_mul_f64 v[224:225], v[18:19], s[38:39]
	v_fma_f64 v[182:183], v[14:15], s[38:39], -v[8:9]
	s_mov_b32 s47, 0xbfd71e95
	s_mov_b32 s46, s48
	v_add_f64 v[182:183], v[182:183], v[38:39]
	v_fma_f64 v[38:39], s[56:57], v[40:41], v[224:225]
	v_mul_f64 v[230:231], v[26:27], s[46:47]
	v_add_f64 v[186:187], v[38:39], v[42:43]
	v_mul_f64 v[208:209], v[18:19], s[30:31]
	v_fma_f64 v[38:39], v[14:15], s[30:31], -v[230:231]
	v_accvgpr_write_b32 a97, v1
	v_add_f64 v[62:63], v[38:39], v[24:25]
	v_fma_f64 v[24:25], s[46:47], v[40:41], v[208:209]
	v_add_f64 v[42:43], v[166:167], -v[170:171]
	v_accvgpr_write_b32 a96, v0
	v_add_f64 v[0:1], v[24:25], v[180:181]
	v_add_f64 v[24:25], v[164:165], v[168:169]
	;; [unrolled: 1-line block ×3, first 2 shown]
	v_mul_f64 v[226:227], v[42:43], s[52:53]
	v_add_f64 v[204:205], v[164:165], -v[168:169]
	v_mul_f64 v[222:223], v[38:39], s[26:27]
	v_fma_f64 v[180:181], v[24:25], s[26:27], -v[226:227]
	s_mov_b32 s51, 0xbfe9895b
	s_mov_b32 s50, s56
	v_add_f64 v[184:185], v[180:181], v[182:183]
	v_fma_f64 v[180:181], s[52:53], v[204:205], v[222:223]
	v_mul_f64 v[216:217], v[42:43], s[50:51]
	v_add_f64 v[186:187], v[180:181], v[186:187]
	v_mul_f64 v[210:211], v[38:39], s[38:39]
	v_fma_f64 v[180:181], v[24:25], s[38:39], -v[216:217]
	v_add_f64 v[180:181], v[180:181], v[62:63]
	v_fma_f64 v[62:63], s[50:51], v[204:205], v[210:211]
	v_add_f64 v[182:183], v[62:63], v[0:1]
	s_barrier
	s_and_saveexec_b64 s[24:25], s[4:5]
	s_cbranch_execz .LBB0_17
; %bb.16:
	v_accvgpr_write_b32 a75, v5
	v_accvgpr_write_b32 a74, v4
	;; [unrolled: 1-line block ×5, first 2 shown]
	v_mul_f64 v[4:5], v[248:249], s[28:29]
	v_accvgpr_write_b32 a18, v56
	v_accvgpr_write_b32 a115, v49
	;; [unrolled: 1-line block ×3, first 2 shown]
	v_mul_f64 v[52:53], v[190:191], s[48:49]
	v_accvgpr_write_b32 a121, v55
	v_accvgpr_write_b32 a19, v57
	;; [unrolled: 1-line block ×4, first 2 shown]
	v_fma_f64 v[56:57], s[16:17], v[240:241], v[4:5]
	v_accvgpr_write_b32 a125, v45
	v_accvgpr_write_b32 a114, v48
	v_mul_f64 v[48:49], v[196:197], s[42:43]
	v_accvgpr_write_b32 a127, v51
	v_accvgpr_write_b32 a120, v54
	v_fma_f64 v[54:55], s[30:31], v[246:247], v[52:53]
	v_add_f64 v[56:57], v[134:135], v[56:57]
	v_accvgpr_write_b32 a123, v33
	v_accvgpr_write_b32 a124, v44
	v_mul_f64 v[44:45], v[202:203], s[52:53]
	v_accvgpr_write_b32 a137, v47
	v_accvgpr_write_b32 a126, v50
	v_fma_f64 v[50:51], s[20:21], v[254:255], v[48:49]
	v_add_f64 v[54:55], v[54:55], v[56:57]
	s_mov_b32 s55, 0x3feca52d
	s_mov_b32 s54, s36
	v_accvgpr_write_b32 a79, v31
	v_accvgpr_write_b32 a122, v32
	v_mul_f64 v[32:33], v[22:23], s[50:51]
	v_accvgpr_write_b32 a113, v35
	v_accvgpr_write_b32 a136, v46
	v_fma_f64 v[46:47], s[26:27], v[192:193], v[44:45]
	v_add_f64 v[50:51], v[50:51], v[54:55]
	v_accvgpr_write_b32 a78, v30
	v_accvgpr_write_b32 a77, v29
	;; [unrolled: 1-line block ×3, first 2 shown]
	v_mul_f64 v[28:29], v[36:37], s[54:55]
	v_accvgpr_write_b32 a112, v34
	v_fma_f64 v[34:35], s[38:39], v[200:201], v[32:33]
	v_add_f64 v[46:47], v[46:47], v[50:51]
	v_accvgpr_write_b32 a129, v11
	v_mul_f64 v[2:3], v[40:41], s[22:23]
	v_accvgpr_write_b32 a140, v219          ;  Reload Reuse
	v_fma_f64 v[30:31], s[34:35], v[12:13], v[28:29]
	v_add_f64 v[34:35], v[34:35], v[46:47]
	v_accvgpr_write_b32 a133, v7
	v_accvgpr_write_b32 a128, v10
	v_mul_f64 v[10:11], v[244:245], s[28:29]
	v_mul_f64 v[0:1], v[204:205], s[60:61]
	v_accvgpr_write_b32 a141, v218          ;  Reload Reuse
	v_mov_b32_e32 v233, v219
	v_fma_f64 v[218:219], s[6:7], v[18:19], v[2:3]
	v_add_f64 v[30:31], v[30:31], v[34:35]
	v_accvgpr_write_b32 a132, v6
	v_mul_f64 v[6:7], v[252:253], s[48:49]
	v_accvgpr_write_b32 a135, v9
	v_accvgpr_write_b32 a0, v220
	;; [unrolled: 1-line block ×3, first 2 shown]
	v_fma_f64 v[220:221], v[238:239], s[16:17], -v[10:11]
	v_fma_f64 v[62:63], s[0:1], v[38:39], v[0:1]
	v_add_f64 v[30:31], v[218:219], v[30:31]
	v_accvgpr_write_b32 a131, v67
	v_mul_f64 v[218:219], v[236:237], s[42:43]
	v_accvgpr_write_b32 a134, v8
	v_fma_f64 v[8:9], v[242:243], s[30:31], -v[6:7]
	v_add_f64 v[220:221], v[132:133], v[220:221]
	v_accvgpr_write_b32 a130, v66
	v_add_f64 v[66:67], v[62:63], v[30:31]
	v_mul_f64 v[62:63], v[198:199], s[52:53]
	v_add_f64 v[8:9], v[8:9], v[220:221]
	v_fma_f64 v[220:221], v[250:251], s[20:21], -v[218:219]
	v_mul_f64 v[58:59], v[16:17], s[50:51]
	v_add_f64 v[8:9], v[220:221], v[8:9]
	v_fma_f64 v[220:221], v[188:189], s[26:27], -v[62:63]
	v_mul_f64 v[54:55], v[20:21], s[54:55]
	v_add_f64 v[8:9], v[220:221], v[8:9]
	v_fma_f64 v[220:221], v[194:195], s[38:39], -v[58:59]
	v_mul_f64 v[46:47], v[26:27], s[22:23]
	v_fma_f64 v[56:57], v[234:235], s[34:35], -v[54:55]
	v_add_f64 v[8:9], v[220:221], v[8:9]
	v_mul_f64 v[30:31], v[42:43], s[60:61]
	v_fma_f64 v[50:51], v[14:15], s[6:7], -v[46:47]
	v_add_f64 v[8:9], v[56:57], v[8:9]
	v_fma_f64 v[34:35], v[24:25], s[0:1], -v[30:31]
	v_add_f64 v[8:9], v[50:51], v[8:9]
	v_fma_f64 v[4:5], v[240:241], s[16:17], -v[4:5]
	v_mov_b64_e32 v[220:221], v[64:65]
	v_add_f64 v[64:65], v[34:35], v[8:9]
	v_fma_f64 v[8:9], v[12:13], s[34:35], -v[28:29]
	v_fma_f64 v[28:29], v[200:201], s[38:39], -v[32:33]
	;; [unrolled: 1-line block ×4, first 2 shown]
	v_add_f64 v[4:5], v[134:135], v[4:5]
	v_fma_f64 v[34:35], v[254:255], s[20:21], -v[48:49]
	v_add_f64 v[4:5], v[44:45], v[4:5]
	v_add_f64 v[4:5], v[34:35], v[4:5]
	;; [unrolled: 1-line block ×4, first 2 shown]
	v_fma_f64 v[2:3], v[18:19], s[6:7], -v[2:3]
	v_add_f64 v[4:5], v[8:9], v[4:5]
	v_fma_f64 v[0:1], v[38:39], s[0:1], -v[0:1]
	v_add_f64 v[2:3], v[2:3], v[4:5]
	v_fmac_f64_e32 v[10:11], s[16:17], v[238:239]
	v_add_f64 v[2:3], v[0:1], v[2:3]
	v_fmac_f64_e32 v[6:7], s[30:31], v[242:243]
	;; [unrolled: 2-line block ×6, first 2 shown]
	v_add_f64 v[0:1], v[58:59], v[0:1]
	v_mul_f64 v[52:53], v[248:249], s[42:43]
	v_add_f64 v[0:1], v[54:55], v[0:1]
	v_mul_f64 v[48:49], v[190:191], s[54:55]
	v_fma_f64 v[54:55], s[20:21], v[240:241], v[52:53]
	v_fmac_f64_e32 v[46:47], s[6:7], v[14:15]
	v_mul_f64 v[44:45], v[196:197], s[18:19]
	v_fma_f64 v[50:51], s[34:35], v[246:247], v[48:49]
	v_add_f64 v[54:55], v[134:135], v[54:55]
	v_add_f64 v[0:1], v[46:47], v[0:1]
	v_mul_f64 v[32:33], v[202:203], s[56:57]
	v_fma_f64 v[46:47], s[0:1], v[254:255], v[44:45]
	v_add_f64 v[50:51], v[50:51], v[54:55]
	v_fmac_f64_e32 v[30:31], s[0:1], v[24:25]
	v_mul_f64 v[28:29], v[22:23], s[46:47]
	v_fma_f64 v[34:35], s[38:39], v[192:193], v[32:33]
	v_add_f64 v[46:47], v[46:47], v[50:51]
	v_mul_f64 v[54:55], v[244:245], s[42:43]
	v_add_f64 v[0:1], v[30:31], v[0:1]
	v_mul_f64 v[8:9], v[36:37], s[28:29]
	v_fma_f64 v[30:31], s[30:31], v[200:201], v[28:29]
	v_add_f64 v[34:35], v[34:35], v[46:47]
	v_mul_f64 v[46:47], v[252:253], s[54:55]
	v_fma_f64 v[56:57], v[238:239], s[20:21], -v[54:55]
	v_accvgpr_write_b32 a83, v3
	v_mul_f64 v[4:5], v[40:41], s[52:53]
	v_fma_f64 v[10:11], s[16:17], v[12:13], v[8:9]
	v_add_f64 v[30:31], v[30:31], v[34:35]
	v_mul_f64 v[34:35], v[236:237], s[18:19]
	v_fma_f64 v[50:51], v[242:243], s[34:35], -v[46:47]
	v_add_f64 v[56:57], v[132:133], v[56:57]
	v_accvgpr_write_b32 a82, v2
	v_accvgpr_write_b32 a81, v1
	;; [unrolled: 1-line block ×3, first 2 shown]
	v_mul_f64 v[0:1], v[204:205], s[22:23]
	v_fma_f64 v[6:7], s[26:27], v[18:19], v[4:5]
	v_add_f64 v[10:11], v[10:11], v[30:31]
	v_mul_f64 v[30:31], v[198:199], s[56:57]
	v_add_f64 v[50:51], v[50:51], v[56:57]
	v_fma_f64 v[56:57], v[250:251], s[0:1], -v[34:35]
	v_accvgpr_write_b32 a71, v67
	v_fma_f64 v[2:3], s[6:7], v[38:39], v[0:1]
	v_add_f64 v[6:7], v[6:7], v[10:11]
	v_mul_f64 v[10:11], v[16:17], s[46:47]
	v_add_f64 v[50:51], v[56:57], v[50:51]
	v_fma_f64 v[56:57], v[188:189], s[38:39], -v[30:31]
	v_accvgpr_write_b32 a70, v66
	v_accvgpr_write_b32 a69, v65
	;; [unrolled: 1-line block ×3, first 2 shown]
	v_add_f64 v[64:65], v[2:3], v[6:7]
	v_mul_f64 v[6:7], v[20:21], s[28:29]
	v_add_f64 v[50:51], v[56:57], v[50:51]
	v_fma_f64 v[56:57], v[194:195], s[30:31], -v[10:11]
	v_mul_f64 v[2:3], v[26:27], s[52:53]
	v_add_f64 v[50:51], v[56:57], v[50:51]
	v_fma_f64 v[56:57], v[234:235], s[16:17], -v[6:7]
	v_add_f64 v[50:51], v[56:57], v[50:51]
	v_fma_f64 v[56:57], v[14:15], s[26:27], -v[2:3]
	v_add_f64 v[50:51], v[56:57], v[50:51]
	v_mul_f64 v[56:57], v[42:43], s[22:23]
	v_fma_f64 v[58:59], v[24:25], s[6:7], -v[56:57]
	v_add_f64 v[62:63], v[58:59], v[50:51]
	v_fma_f64 v[50:51], v[240:241], s[20:21], -v[52:53]
	v_fma_f64 v[48:49], v[246:247], s[34:35], -v[48:49]
	v_add_f64 v[50:51], v[134:135], v[50:51]
	v_fma_f64 v[44:45], v[254:255], s[0:1], -v[44:45]
	v_add_f64 v[48:49], v[48:49], v[50:51]
	;; [unrolled: 2-line block ×7, first 2 shown]
	v_fmac_f64_e32 v[54:55], s[20:21], v[238:239]
	v_add_f64 v[4:5], v[0:1], v[4:5]
	v_fmac_f64_e32 v[46:47], s[34:35], v[242:243]
	v_add_f64 v[0:1], v[132:133], v[54:55]
	;; [unrolled: 2-line block ×5, first 2 shown]
	v_mul_f64 v[48:49], v[248:249], s[50:51]
	v_fmac_f64_e32 v[6:7], s[16:17], v[234:235]
	v_add_f64 v[0:1], v[10:11], v[0:1]
	v_mul_f64 v[44:45], v[190:191], s[44:45]
	v_fma_f64 v[50:51], s[38:39], v[240:241], v[48:49]
	v_fmac_f64_e32 v[2:3], s[26:27], v[14:15]
	v_add_f64 v[0:1], v[6:7], v[0:1]
	v_mul_f64 v[32:33], v[196:197], s[46:47]
	v_fma_f64 v[46:47], s[6:7], v[246:247], v[44:45]
	v_add_f64 v[50:51], v[134:135], v[50:51]
	v_fmac_f64_e32 v[56:57], s[6:7], v[24:25]
	v_add_f64 v[0:1], v[2:3], v[0:1]
	v_mul_f64 v[28:29], v[202:203], s[42:43]
	v_fma_f64 v[34:35], s[30:31], v[254:255], v[32:33]
	v_add_f64 v[46:47], v[46:47], v[50:51]
	v_add_f64 v[2:3], v[56:57], v[0:1]
	v_accvgpr_write_b32 a91, v5
	s_mov_b32 s59, 0xbfe58eea
	s_mov_b32 s58, s52
	v_mul_f64 v[8:9], v[22:23], s[60:61]
	v_fma_f64 v[30:31], s[20:21], v[192:193], v[28:29]
	v_add_f64 v[34:35], v[34:35], v[46:47]
	v_mul_f64 v[50:51], v[244:245], s[50:51]
	v_accvgpr_write_b32 a90, v4
	v_accvgpr_write_b32 a89, v3
	v_accvgpr_write_b32 a88, v2
	v_mul_f64 v[4:5], v[36:37], s[58:59]
	v_fma_f64 v[10:11], s[0:1], v[200:201], v[8:9]
	v_add_f64 v[30:31], v[30:31], v[34:35]
	v_mul_f64 v[34:35], v[252:253], s[44:45]
	v_fma_f64 v[52:53], v[238:239], s[38:39], -v[50:51]
	v_mul_f64 v[0:1], v[40:41], s[28:29]
	v_fma_f64 v[6:7], s[26:27], v[12:13], v[4:5]
	v_add_f64 v[10:11], v[10:11], v[30:31]
	v_mul_f64 v[30:31], v[236:237], s[46:47]
	v_fma_f64 v[46:47], v[242:243], s[6:7], -v[34:35]
	v_add_f64 v[52:53], v[132:133], v[52:53]
	v_fma_f64 v[2:3], s[16:17], v[18:19], v[0:1]
	v_add_f64 v[6:7], v[6:7], v[10:11]
	v_mul_f64 v[10:11], v[198:199], s[42:43]
	v_add_f64 v[46:47], v[46:47], v[52:53]
	v_fma_f64 v[52:53], v[250:251], s[30:31], -v[30:31]
	v_add_f64 v[2:3], v[2:3], v[6:7]
	v_mul_f64 v[6:7], v[16:17], s[60:61]
	v_add_f64 v[46:47], v[52:53], v[46:47]
	v_fma_f64 v[52:53], v[188:189], s[20:21], -v[10:11]
	v_add_f64 v[46:47], v[52:53], v[46:47]
	v_fma_f64 v[52:53], v[194:195], s[0:1], -v[6:7]
	v_add_f64 v[46:47], v[52:53], v[46:47]
	v_mul_f64 v[52:53], v[20:21], s[58:59]
	v_fma_f64 v[54:55], v[234:235], s[26:27], -v[52:53]
	v_add_f64 v[46:47], v[54:55], v[46:47]
	v_mul_f64 v[54:55], v[26:27], s[28:29]
	;; [unrolled: 3-line block ×3, first 2 shown]
	v_accvgpr_write_b32 a87, v65
	v_fma_f64 v[58:59], s[34:35], v[38:39], v[56:57]
	v_accvgpr_write_b32 a86, v64
	v_accvgpr_write_b32 a85, v63
	;; [unrolled: 1-line block ×3, first 2 shown]
	v_add_f64 v[64:65], v[58:59], v[2:3]
	v_mul_f64 v[2:3], v[42:43], s[54:55]
	v_fma_f64 v[58:59], v[24:25], s[34:35], -v[2:3]
	v_add_f64 v[62:63], v[58:59], v[46:47]
	v_fma_f64 v[46:47], v[240:241], s[38:39], -v[48:49]
	v_fma_f64 v[44:45], v[246:247], s[6:7], -v[44:45]
	v_add_f64 v[46:47], v[134:135], v[46:47]
	v_add_f64 v[44:45], v[44:45], v[46:47]
	v_fma_f64 v[32:33], v[254:255], s[30:31], -v[32:33]
	v_add_f64 v[32:33], v[32:33], v[44:45]
	v_fma_f64 v[28:29], v[192:193], s[20:21], -v[28:29]
	v_fmac_f64_e32 v[50:51], s[38:39], v[238:239]
	v_add_f64 v[28:29], v[28:29], v[32:33]
	v_fmac_f64_e32 v[34:35], s[6:7], v[242:243]
	v_add_f64 v[32:33], v[132:133], v[50:51]
	v_add_f64 v[32:33], v[34:35], v[32:33]
	v_fmac_f64_e32 v[30:31], s[30:31], v[250:251]
	v_fma_f64 v[8:9], v[200:201], s[0:1], -v[8:9]
	v_add_f64 v[30:31], v[30:31], v[32:33]
	v_fmac_f64_e32 v[10:11], s[20:21], v[188:189]
	v_add_f64 v[8:9], v[8:9], v[28:29]
	v_fma_f64 v[4:5], v[12:13], s[26:27], -v[4:5]
	v_add_f64 v[10:11], v[10:11], v[30:31]
	v_fmac_f64_e32 v[6:7], s[0:1], v[194:195]
	v_add_f64 v[4:5], v[4:5], v[8:9]
	v_fma_f64 v[0:1], v[18:19], s[16:17], -v[0:1]
	v_mul_f64 v[34:35], v[248:249], s[22:23]
	v_add_f64 v[6:7], v[6:7], v[10:11]
	v_fmac_f64_e32 v[52:53], s[26:27], v[234:235]
	v_accvgpr_read_b32 v58, a98
	v_add_f64 v[0:1], v[0:1], v[4:5]
	v_add_f64 v[6:7], v[52:53], v[6:7]
	v_mul_f64 v[44:45], v[190:191], s[40:41]
	v_fmac_f64_e32 v[54:55], s[16:17], v[14:15]
	v_fma_f64 v[48:49], v[38:39], s[34:35], -v[56:57]
	v_accvgpr_read_b32 v56, a108
	v_accvgpr_read_b32 v59, a99
	v_add_f64 v[34:35], v[220:221], -v[34:35]
	v_add_f64 v[6:7], v[54:55], v[6:7]
	v_add_f64 v[50:51], v[48:49], v[0:1]
	v_fmac_f64_e32 v[2:3], s[34:35], v[24:25]
	v_mul_f64 v[54:55], v[196:197], s[52:53]
	v_accvgpr_read_b32 v57, a109
	v_add_f64 v[44:45], v[58:59], -v[44:45]
	v_add_f64 v[34:35], v[134:135], v[34:35]
	v_add_f64 v[48:49], v[2:3], v[6:7]
	v_accvgpr_write_b32 a119, v51
	v_mul_f64 v[52:53], v[202:203], s[36:37]
	v_add_f64 v[54:55], v[56:57], -v[54:55]
	v_add_f64 v[34:35], v[44:45], v[34:35]
	v_accvgpr_write_b32 a103, v65
	v_accvgpr_write_b32 a118, v50
	;; [unrolled: 1-line block ×4, first 2 shown]
	v_mul_f64 v[50:51], v[22:23], s[28:29]
	v_add_f64 v[52:53], v[214:215], -v[52:53]
	v_add_f64 v[34:35], v[54:55], v[34:35]
	v_accvgpr_write_b32 a102, v64
	v_accvgpr_write_b32 a101, v63
	;; [unrolled: 1-line block ×3, first 2 shown]
	v_add_f64 v[50:51], v[228:229], -v[50:51]
	v_add_f64 v[34:35], v[52:53], v[34:35]
	v_accvgpr_read_b32 v64, a110
	v_mul_f64 v[48:49], v[36:37], s[60:61]
	v_add_f64 v[34:35], v[50:51], v[34:35]
	v_mul_f64 v[50:51], v[194:195], s[16:17]
	v_accvgpr_read_b32 v65, a111
	v_mul_f64 v[6:7], v[40:41], s[46:47]
	v_add_f64 v[48:49], v[206:207], -v[48:49]
	v_add_f64 v[50:51], v[50:51], v[64:65]
	v_accvgpr_read_b32 v64, a106
	v_mul_f64 v[2:3], v[204:205], s[50:51]
	v_add_f64 v[6:7], v[208:209], -v[6:7]
	v_mul_f64 v[44:45], v[188:189], s[34:35]
	v_add_f64 v[34:35], v[48:49], v[34:35]
	v_accvgpr_read_b32 v65, a107
	v_add_f64 v[2:3], v[210:211], -v[2:3]
	v_add_f64 v[6:7], v[6:7], v[34:35]
	v_add_f64 v[44:45], v[44:45], v[64:65]
	v_accvgpr_read_b32 v64, a92
	v_mul_f64 v[56:57], v[250:251], s[26:27]
	v_accvgpr_read_b32 v65, a93
	v_add_f64 v[214:215], v[2:3], v[6:7]
	v_accvgpr_read_b32 v2, a136
	v_mul_f64 v[4:5], v[238:239], s[6:7]
	v_add_f64 v[56:57], v[56:57], v[64:65]
	v_accvgpr_read_b32 v64, a138
	v_accvgpr_read_b32 v3, a137
	v_mul_f64 v[10:11], v[242:243], s[20:21]
	v_accvgpr_read_b32 v65, a139
	v_add_f64 v[2:3], v[4:5], v[2:3]
	v_add_f64 v[10:11], v[10:11], v[64:65]
	;; [unrolled: 1-line block ×6, first 2 shown]
	v_accvgpr_read_b32 v44, a126
	v_mul_f64 v[0:1], v[196:197], s[44:45]
	v_accvgpr_read_b32 v45, a127
	v_add_f64 v[0:1], v[44:45], -v[0:1]
	v_accvgpr_read_b32 v44, a124
	v_mul_f64 v[30:31], v[190:191], s[28:29]
	v_mul_f64 v[208:209], v[234:235], s[0:1]
	v_accvgpr_read_b32 v45, a125
	v_mul_f64 v[206:207], v[14:15], s[30:31]
	v_add_f64 v[208:209], v[208:209], v[212:213]
	v_add_f64 v[2:3], v[50:51], v[2:3]
	v_add_f64 v[30:31], v[44:45], -v[30:31]
	v_accvgpr_read_b32 v44, a122
	v_mul_f64 v[8:9], v[248:249], s[18:19]
	v_mul_f64 v[34:35], v[24:25], s[38:39]
	v_add_f64 v[206:207], v[206:207], v[230:231]
	v_add_f64 v[2:3], v[208:209], v[2:3]
	v_accvgpr_read_b32 v45, a123
	v_add_f64 v[34:35], v[34:35], v[216:217]
	v_add_f64 v[2:3], v[206:207], v[2:3]
	v_add_f64 v[8:9], v[44:45], -v[8:9]
	v_add_f64 v[212:213], v[34:35], v[2:3]
	v_accvgpr_read_b32 v34, a130
	v_add_f64 v[8:9], v[134:135], v[8:9]
	v_mul_f64 v[62:63], v[202:203], s[48:49]
	v_accvgpr_read_b32 v10, a94
	v_accvgpr_read_b32 v35, a131
	v_add_f64 v[8:9], v[30:31], v[8:9]
	v_mul_f64 v[52:53], v[22:23], s[36:37]
	v_accvgpr_read_b32 v6, a104
	v_accvgpr_read_b32 v11, a95
	v_add_f64 v[34:35], v[34:35], -v[62:63]
	v_add_f64 v[0:1], v[0:1], v[8:9]
	v_accvgpr_read_b32 v30, a112
	v_mul_f64 v[32:33], v[242:243], s[16:17]
	v_mul_f64 v[210:211], v[36:37], s[42:43]
	v_accvgpr_read_b32 v7, a105
	v_add_f64 v[10:11], v[10:11], -v[52:53]
	v_add_f64 v[0:1], v[34:35], v[0:1]
	v_accvgpr_read_b32 v31, a113
	v_mul_f64 v[218:219], v[40:41], s[56:57]
	v_add_f64 v[6:7], v[6:7], -v[210:211]
	v_add_f64 v[0:1], v[10:11], v[0:1]
	v_add_f64 v[30:31], v[32:33], v[30:31]
	v_accvgpr_read_b32 v32, a128
	v_mul_f64 v[28:29], v[238:239], s[0:1]
	v_add_f64 v[4:5], v[224:225], -v[218:219]
	v_add_f64 v[0:1], v[6:7], v[0:1]
	v_accvgpr_read_b32 v33, a129
	v_mul_f64 v[228:229], v[204:205], s[52:53]
	v_add_f64 v[0:1], v[4:5], v[0:1]
	v_accvgpr_read_b32 v4, a96
	v_accvgpr_read_b32 v6, a132
	;; [unrolled: 1-line block ×3, first 2 shown]
	v_add_f64 v[28:29], v[28:29], v[32:33]
	v_mul_f64 v[46:47], v[250:251], s[6:7]
	v_mul_f64 v[54:55], v[194:195], s[34:35]
	;; [unrolled: 1-line block ×3, first 2 shown]
	v_add_f64 v[2:3], v[222:223], -v[228:229]
	v_accvgpr_read_b32 v5, a97
	v_accvgpr_read_b32 v7, a133
	;; [unrolled: 1-line block ×4, first 2 shown]
	v_add_f64 v[28:29], v[132:133], v[28:29]
	v_mul_f64 v[52:53], v[248:249], s[36:37]
	v_mul_f64 v[58:59], v[188:189], s[30:31]
	v_add_f64 v[222:223], v[2:3], v[0:1]
	v_accvgpr_read_b32 v2, a134
	v_add_f64 v[4:5], v[48:49], v[4:5]
	v_add_f64 v[6:7], v[54:55], v[6:7]
	v_accvgpr_read_b32 v9, a121
	v_add_f64 v[10:11], v[46:47], v[10:11]
	v_add_f64 v[28:29], v[30:31], v[28:29]
	s_mov_b32 s57, 0x3fc7851a
	s_mov_b32 s56, s28
	v_mul_f64 v[48:49], v[190:191], s[50:51]
	v_fma_f64 v[54:55], s[34:35], v[240:241], v[52:53]
	v_mul_f64 v[216:217], v[14:15], s[38:39]
	v_accvgpr_read_b32 v3, a135
	v_add_f64 v[8:9], v[58:59], v[8:9]
	v_add_f64 v[10:11], v[10:11], v[28:29]
	v_mul_f64 v[44:45], v[196:197], s[56:57]
	v_fma_f64 v[50:51], s[38:39], v[246:247], v[48:49]
	v_add_f64 v[54:55], v[134:135], v[54:55]
	v_mul_f64 v[224:225], v[244:245], s[36:37]
	v_add_f64 v[2:3], v[216:217], v[2:3]
	v_add_f64 v[8:9], v[8:9], v[10:11]
	v_mul_f64 v[32:33], v[202:203], s[44:45]
	v_fma_f64 v[46:47], s[16:17], v[254:255], v[44:45]
	v_add_f64 v[50:51], v[50:51], v[54:55]
	v_mul_f64 v[208:209], v[252:253], s[50:51]
	v_fma_f64 v[216:217], v[238:239], s[34:35], -v[224:225]
	v_add_f64 v[6:7], v[6:7], v[8:9]
	v_mul_f64 v[28:29], v[22:23], s[52:53]
	v_fma_f64 v[34:35], s[6:7], v[192:193], v[32:33]
	v_add_f64 v[46:47], v[46:47], v[50:51]
	v_mul_f64 v[62:63], v[236:237], s[56:57]
	v_fma_f64 v[210:211], v[242:243], s[38:39], -v[208:209]
	v_add_f64 v[216:217], v[132:133], v[216:217]
	v_mul_f64 v[220:221], v[24:25], s[26:27]
	v_add_f64 v[4:5], v[4:5], v[6:7]
	v_mul_f64 v[8:9], v[36:37], s[46:47]
	v_fma_f64 v[30:31], s[26:27], v[200:201], v[28:29]
	v_add_f64 v[34:35], v[34:35], v[46:47]
	v_mul_f64 v[56:57], v[198:199], s[44:45]
	v_fma_f64 v[206:207], v[250:251], s[16:17], -v[62:63]
	v_add_f64 v[210:211], v[210:211], v[216:217]
	v_add_f64 v[0:1], v[220:221], v[226:227]
	;; [unrolled: 1-line block ×3, first 2 shown]
	v_mul_f64 v[4:5], v[40:41], s[18:19]
	v_fma_f64 v[10:11], s[30:31], v[12:13], v[8:9]
	v_add_f64 v[30:31], v[30:31], v[34:35]
	v_mul_f64 v[50:51], v[16:17], s[52:53]
	v_fma_f64 v[58:59], v[188:189], s[6:7], -v[56:57]
	v_add_f64 v[206:207], v[206:207], v[210:211]
	v_add_f64 v[220:221], v[0:1], v[2:3]
	v_mul_f64 v[0:1], v[204:205], s[42:43]
	v_fma_f64 v[6:7], s[0:1], v[18:19], v[4:5]
	v_add_f64 v[10:11], v[10:11], v[30:31]
	v_mul_f64 v[34:35], v[20:21], s[46:47]
	v_fma_f64 v[54:55], v[194:195], s[26:27], -v[50:51]
	v_add_f64 v[58:59], v[58:59], v[206:207]
	v_fma_f64 v[2:3], s[20:21], v[38:39], v[0:1]
	v_add_f64 v[6:7], v[6:7], v[10:11]
	v_mul_f64 v[10:11], v[26:27], s[18:19]
	v_fma_f64 v[46:47], v[234:235], s[30:31], -v[34:35]
	v_add_f64 v[54:55], v[54:55], v[58:59]
	v_add_f64 v[218:219], v[2:3], v[6:7]
	v_mul_f64 v[2:3], v[42:43], s[42:43]
	v_fma_f64 v[30:31], v[14:15], s[0:1], -v[10:11]
	v_add_f64 v[46:47], v[46:47], v[54:55]
	v_fma_f64 v[6:7], v[24:25], s[20:21], -v[2:3]
	v_add_f64 v[30:31], v[30:31], v[46:47]
	v_add_f64 v[216:217], v[6:7], v[30:31]
	v_fma_f64 v[30:31], v[254:255], s[16:17], -v[44:45]
	v_fma_f64 v[44:45], v[240:241], s[34:35], -v[52:53]
	;; [unrolled: 1-line block ×6, first 2 shown]
	v_add_f64 v[44:45], v[134:135], v[44:45]
	v_add_f64 v[32:33], v[32:33], v[44:45]
	;; [unrolled: 1-line block ×5, first 2 shown]
	v_fma_f64 v[4:5], v[18:19], s[0:1], -v[4:5]
	v_add_f64 v[6:7], v[6:7], v[8:9]
	v_fma_f64 v[0:1], v[38:39], s[20:21], -v[0:1]
	v_add_f64 v[4:5], v[4:5], v[6:7]
	v_fmac_f64_e32 v[224:225], s[34:35], v[238:239]
	v_add_f64 v[230:231], v[0:1], v[4:5]
	v_fmac_f64_e32 v[208:209], s[38:39], v[242:243]
	;; [unrolled: 2-line block ×4, first 2 shown]
	v_add_f64 v[0:1], v[62:63], v[0:1]
	v_mul_f64 v[52:53], v[248:249], s[58:59]
	v_fmac_f64_e32 v[50:51], s[26:27], v[194:195]
	v_add_f64 v[0:1], v[56:57], v[0:1]
	v_mul_f64 v[48:49], v[190:191], s[18:19]
	v_fma_f64 v[54:55], s[26:27], v[240:241], v[52:53]
	v_add_f64 v[0:1], v[50:51], v[0:1]
	v_mul_f64 v[44:45], v[196:197], s[50:51]
	v_fma_f64 v[50:51], s[0:1], v[246:247], v[48:49]
	v_add_f64 v[54:55], v[134:135], v[54:55]
	v_mul_f64 v[64:65], v[244:245], s[58:59]
	v_fmac_f64_e32 v[34:35], s[30:31], v[234:235]
	v_mul_f64 v[32:33], v[202:203], s[28:29]
	v_fma_f64 v[46:47], s[38:39], v[254:255], v[44:45]
	v_add_f64 v[50:51], v[50:51], v[54:55]
	v_mul_f64 v[208:209], v[252:253], s[18:19]
	v_fma_f64 v[66:67], v[238:239], s[26:27], -v[64:65]
	v_add_f64 v[0:1], v[34:35], v[0:1]
	v_mul_f64 v[28:29], v[22:23], s[40:41]
	v_fma_f64 v[34:35], s[16:17], v[192:193], v[32:33]
	v_add_f64 v[46:47], v[46:47], v[50:51]
	v_mul_f64 v[62:63], v[236:237], s[50:51]
	v_fma_f64 v[210:211], v[242:243], s[0:1], -v[208:209]
	v_add_f64 v[66:67], v[132:133], v[66:67]
	v_fmac_f64_e32 v[10:11], s[0:1], v[14:15]
	v_mul_f64 v[8:9], v[36:37], s[44:45]
	v_fma_f64 v[30:31], s[20:21], v[200:201], v[28:29]
	v_add_f64 v[34:35], v[34:35], v[46:47]
	v_mul_f64 v[56:57], v[198:199], s[28:29]
	v_fma_f64 v[206:207], v[250:251], s[38:39], -v[62:63]
	v_add_f64 v[66:67], v[210:211], v[66:67]
	v_fmac_f64_e32 v[2:3], s[20:21], v[24:25]
	v_add_f64 v[0:1], v[10:11], v[0:1]
	v_mul_f64 v[4:5], v[40:41], s[54:55]
	v_fma_f64 v[10:11], s[6:7], v[12:13], v[8:9]
	v_add_f64 v[30:31], v[30:31], v[34:35]
	v_mul_f64 v[50:51], v[16:17], s[40:41]
	v_fma_f64 v[58:59], v[188:189], s[16:17], -v[56:57]
	v_add_f64 v[66:67], v[206:207], v[66:67]
	v_add_f64 v[228:229], v[2:3], v[0:1]
	v_mul_f64 v[0:1], v[204:205], s[48:49]
	v_fma_f64 v[6:7], s[34:35], v[18:19], v[4:5]
	v_add_f64 v[10:11], v[10:11], v[30:31]
	v_mul_f64 v[34:35], v[20:21], s[44:45]
	v_fma_f64 v[54:55], v[194:195], s[20:21], -v[50:51]
	v_add_f64 v[58:59], v[58:59], v[66:67]
	v_fma_f64 v[2:3], s[30:31], v[38:39], v[0:1]
	v_add_f64 v[6:7], v[6:7], v[10:11]
	v_mul_f64 v[10:11], v[26:27], s[54:55]
	v_fma_f64 v[46:47], v[234:235], s[6:7], -v[34:35]
	v_add_f64 v[54:55], v[54:55], v[58:59]
	v_add_f64 v[226:227], v[2:3], v[6:7]
	v_mul_f64 v[6:7], v[42:43], s[48:49]
	v_fma_f64 v[30:31], v[14:15], s[34:35], -v[10:11]
	v_add_f64 v[46:47], v[46:47], v[54:55]
	v_fma_f64 v[2:3], v[24:25], s[30:31], -v[6:7]
	v_add_f64 v[30:31], v[30:31], v[46:47]
	v_add_f64 v[224:225], v[2:3], v[30:31]
	v_fma_f64 v[30:31], v[254:255], s[38:39], -v[44:45]
	v_fma_f64 v[44:45], v[240:241], s[26:27], -v[52:53]
	;; [unrolled: 1-line block ×7, first 2 shown]
	v_add_f64 v[44:45], v[134:135], v[44:45]
	v_add_f64 v[32:33], v[32:33], v[44:45]
	;; [unrolled: 1-line block ×6, first 2 shown]
	v_fma_f64 v[0:1], v[38:39], s[30:31], -v[0:1]
	v_add_f64 v[2:3], v[2:3], v[4:5]
	v_fmac_f64_e32 v[64:65], s[26:27], v[238:239]
	v_add_f64 v[2:3], v[0:1], v[2:3]
	v_fmac_f64_e32 v[208:209], s[0:1], v[242:243]
	;; [unrolled: 2-line block ×6, first 2 shown]
	v_add_f64 v[0:1], v[50:51], v[0:1]
	v_mul_f64 v[50:51], v[248:249], s[46:47]
	v_fmac_f64_e32 v[10:11], s[34:35], v[14:15]
	v_add_f64 v[0:1], v[34:35], v[0:1]
	v_mul_f64 v[46:47], v[190:191], s[58:59]
	v_fma_f64 v[52:53], s[30:31], v[240:241], v[50:51]
	v_add_f64 v[0:1], v[10:11], v[0:1]
	v_mul_f64 v[10:11], v[40:41], s[42:43]
	v_mul_f64 v[40:41], v[196:197], s[36:37]
	v_fma_f64 v[48:49], s[26:27], v[246:247], v[46:47]
	v_add_f64 v[52:53], v[134:135], v[52:53]
	v_mul_f64 v[34:35], v[202:203], s[18:19]
	v_fma_f64 v[44:45], s[34:35], v[254:255], v[40:41]
	v_add_f64 v[48:49], v[48:49], v[52:53]
	v_mul_f64 v[62:63], v[244:245], s[46:47]
	v_mul_f64 v[28:29], v[36:37], s[50:51]
	;; [unrolled: 1-line block ×3, first 2 shown]
	v_fma_f64 v[36:37], s[0:1], v[192:193], v[34:35]
	v_add_f64 v[44:45], v[44:45], v[48:49]
	v_mul_f64 v[56:57], v[252:253], s[58:59]
	v_fma_f64 v[64:65], v[238:239], s[30:31], -v[62:63]
	v_fma_f64 v[32:33], s[6:7], v[200:201], v[22:23]
	v_add_f64 v[36:37], v[36:37], v[44:45]
	v_mul_f64 v[52:53], v[236:237], s[36:37]
	v_fma_f64 v[58:59], v[242:243], s[26:27], -v[56:57]
	v_add_f64 v[64:65], v[132:133], v[64:65]
	v_fmac_f64_e32 v[6:7], s[30:31], v[24:25]
	v_fma_f64 v[30:31], s[38:39], v[12:13], v[28:29]
	v_add_f64 v[32:33], v[32:33], v[36:37]
	v_mul_f64 v[44:45], v[198:199], s[18:19]
	v_fma_f64 v[54:55], v[250:251], s[34:35], -v[52:53]
	v_add_f64 v[58:59], v[58:59], v[64:65]
	v_add_f64 v[0:1], v[6:7], v[0:1]
	v_fma_f64 v[6:7], s[20:21], v[18:19], v[10:11]
	v_add_f64 v[30:31], v[30:31], v[32:33]
	v_mul_f64 v[16:17], v[16:17], s[22:23]
	v_fma_f64 v[48:49], v[188:189], s[0:1], -v[44:45]
	v_add_f64 v[54:55], v[54:55], v[58:59]
	v_add_f64 v[6:7], v[6:7], v[30:31]
	v_mul_f64 v[30:31], v[42:43], s[28:29]
	v_mul_f64 v[20:21], v[20:21], s[50:51]
	v_fma_f64 v[42:43], v[194:195], s[6:7], -v[16:17]
	v_add_f64 v[48:49], v[48:49], v[54:55]
	v_mul_f64 v[8:9], v[204:205], s[28:29]
	v_mul_f64 v[26:27], v[26:27], s[42:43]
	v_fma_f64 v[36:37], v[234:235], s[38:39], -v[20:21]
	v_add_f64 v[42:43], v[42:43], v[48:49]
	v_fma_f64 v[4:5], s[16:17], v[38:39], v[8:9]
	v_fma_f64 v[32:33], v[14:15], s[20:21], -v[26:27]
	v_add_f64 v[36:37], v[36:37], v[42:43]
	v_add_f64 v[6:7], v[4:5], v[6:7]
	v_fma_f64 v[4:5], v[24:25], s[16:17], -v[30:31]
	v_add_f64 v[32:33], v[32:33], v[36:37]
	v_fma_f64 v[10:11], v[18:19], s[20:21], -v[10:11]
	v_fma_f64 v[18:19], v[200:201], s[6:7], -v[22:23]
	v_fma_f64 v[22:23], v[192:193], s[0:1], -v[34:35]
	v_fma_f64 v[34:35], v[240:241], s[30:31], -v[50:51]
	v_add_f64 v[4:5], v[4:5], v[32:33]
	v_fma_f64 v[32:33], v[246:247], s[26:27], -v[46:47]
	v_add_f64 v[34:35], v[134:135], v[34:35]
	v_fma_f64 v[12:13], v[12:13], s[38:39], -v[28:29]
	v_fma_f64 v[28:29], v[254:255], s[34:35], -v[40:41]
	v_add_f64 v[32:33], v[32:33], v[34:35]
	v_add_f64 v[28:29], v[28:29], v[32:33]
	v_add_f64 v[22:23], v[22:23], v[28:29]
	v_add_f64 v[18:19], v[18:19], v[22:23]
	v_add_f64 v[12:13], v[12:13], v[18:19]
	v_add_f64 v[10:11], v[10:11], v[12:13]
	v_add_f64 v[12:13], v[134:135], v[138:139]
	v_add_f64 v[12:13], v[12:13], v[142:143]
	v_add_f64 v[12:13], v[12:13], v[146:147]
	v_add_f64 v[12:13], v[12:13], v[150:151]
	v_add_f64 v[12:13], v[12:13], v[154:155]
	v_add_f64 v[12:13], v[12:13], v[158:159]
	v_fma_f64 v[8:9], v[38:39], s[16:17], -v[8:9]
	v_fmac_f64_e32 v[62:63], s[30:31], v[238:239]
	v_add_f64 v[12:13], v[12:13], v[162:163]
	v_add_f64 v[10:11], v[8:9], v[10:11]
	v_fmac_f64_e32 v[56:57], s[26:27], v[242:243]
	v_add_f64 v[8:9], v[132:133], v[62:63]
	v_add_f64 v[12:13], v[12:13], v[166:167]
	;; [unrolled: 3-line block ×6, first 2 shown]
	v_add_f64 v[8:9], v[20:21], v[8:9]
	v_add_f64 v[12:13], v[12:13], v[130:131]
	v_accvgpr_read_b32 v20, a76
	v_add_f64 v[12:13], v[12:13], v[70:71]
	v_accvgpr_read_b32 v22, a78
	v_accvgpr_read_b32 v23, a79
	v_accvgpr_read_b32 v16, a72
	v_add_f64 v[12:13], v[12:13], v[22:23]
	v_accvgpr_read_b32 v18, a74
	v_accvgpr_read_b32 v19, a75
	v_fmac_f64_e32 v[26:27], s[20:21], v[14:15]
	v_add_f64 v[14:15], v[12:13], v[18:19]
	v_add_f64 v[12:13], v[132:133], v[136:137]
	;; [unrolled: 1-line block ×14, first 2 shown]
	v_accvgpr_read_b32 v21, a77
	v_add_f64 v[12:13], v[12:13], v[68:69]
	v_accvgpr_read_b32 v17, a73
	v_add_f64 v[12:13], v[12:13], v[20:21]
	v_add_f64 v[12:13], v[12:13], v[16:17]
	v_accvgpr_read_b32 v17, a140            ;  Reload Reuse
	v_accvgpr_read_b32 v16, a141            ;  Reload Reuse
	v_mul_lo_u16_e32 v16, 17, v16
	v_fmac_f64_e32 v[30:31], s[16:17], v[24:25]
	v_add_f64 v[8:9], v[26:27], v[8:9]
	v_lshlrev_b32_e32 v16, 4, v16
	v_accvgpr_read_b32 v59, a21
	v_add_f64 v[8:9], v[30:31], v[8:9]
	ds_write_b128 v16, v[12:15]
	ds_write_b128 v16, v[8:11] offset:16
	ds_write_b128 v16, v[0:3] offset:32
	;; [unrolled: 1-line block ×14, first 2 shown]
	v_accvgpr_read_b32 v219, a140           ;  Reload Reuse
	v_accvgpr_read_b32 v58, a20
	v_accvgpr_read_b32 v57, a19
	;; [unrolled: 1-line block ×5, first 2 shown]
	v_accvgpr_read_b32 v218, a141           ;  Reload Reuse
	v_mov_b32_e32 v219, v233
	ds_write_b128 v16, v[224:227] offset:240
	ds_write_b128 v16, v[4:7] offset:256
.LBB0_17:
	s_or_b64 exec, exec, s[24:25]
	v_accvgpr_read_b32 v33, a25
	v_accvgpr_read_b32 v32, a24
	s_waitcnt lgkmcnt(0)
	s_barrier
	ds_read_b128 v[0:3], v60
	ds_read_b128 v[4:7], v60 offset:1904
	ds_read_b128 v[8:11], v60 offset:11424
	;; [unrolled: 1-line block ×11, first 2 shown]
	v_accvgpr_read_b32 v31, a23
	v_accvgpr_read_b32 v30, a22
	s_waitcnt lgkmcnt(9)
	v_mul_f64 v[28:29], v[32:33], v[10:11]
	v_fmac_f64_e32 v[28:29], v[30:31], v[8:9]
	v_mul_f64 v[8:9], v[32:33], v[8:9]
	v_fma_f64 v[8:9], v[30:31], v[10:11], -v[8:9]
	s_waitcnt lgkmcnt(8)
	v_mul_f64 v[10:11], v[58:59], v[14:15]
	v_accvgpr_read_b32 v47, a41
	v_fmac_f64_e32 v[10:11], v[56:57], v[12:13]
	v_mul_f64 v[12:13], v[58:59], v[12:13]
	v_accvgpr_read_b32 v46, a40
	v_fma_f64 v[30:31], v[56:57], v[14:15], -v[12:13]
	v_accvgpr_read_b32 v45, a39
	v_accvgpr_read_b32 v44, a38
	s_waitcnt lgkmcnt(5)
	v_mul_f64 v[32:33], v[46:47], v[26:27]
	v_mul_f64 v[12:13], v[46:47], v[24:25]
	v_fmac_f64_e32 v[32:33], v[44:45], v[24:25]
	v_fma_f64 v[34:35], v[44:45], v[26:27], -v[12:13]
	v_accvgpr_read_b32 v24, a34
	v_accvgpr_read_b32 v26, a36
	v_accvgpr_read_b32 v27, a37
	v_accvgpr_read_b32 v25, a35
	s_waitcnt lgkmcnt(4)
	v_mul_f64 v[52:53], v[26:27], v[38:39]
	v_mul_f64 v[12:13], v[26:27], v[36:37]
	v_fmac_f64_e32 v[52:53], v[24:25], v[36:37]
	v_fma_f64 v[54:55], v[24:25], v[38:39], -v[12:13]
	v_accvgpr_read_b32 v24, a42
	v_accvgpr_read_b32 v26, a44
	;; [unrolled: 9-line block ×3, first 2 shown]
	v_accvgpr_read_b32 v27, a49
	v_accvgpr_read_b32 v25, a47
	s_waitcnt lgkmcnt(0)
	v_mul_f64 v[12:13], v[26:27], v[132:133]
	v_add_f64 v[36:37], v[4:5], -v[10:11]
	v_mul_f64 v[62:63], v[26:27], v[134:135]
	v_fma_f64 v[64:65], v[24:25], v[134:135], -v[12:13]
	v_add_f64 v[12:13], v[0:1], -v[28:29]
	v_add_f64 v[14:15], v[2:3], -v[8:9]
	v_fma_f64 v[44:45], v[4:5], 2.0, -v[36:37]
	v_add_f64 v[4:5], v[40:41], -v[56:57]
	v_fmac_f64_e32 v[62:63], v[24:25], v[132:133]
	v_fma_f64 v[24:25], v[0:1], 2.0, -v[12:13]
	v_fma_f64 v[26:27], v[2:3], 2.0, -v[14:15]
	v_add_f64 v[38:39], v[6:7], -v[30:31]
	v_fma_f64 v[8:9], v[40:41], 2.0, -v[4:5]
	v_accvgpr_read_b32 v40, a50
	v_fma_f64 v[46:47], v[6:7], 2.0, -v[38:39]
	v_add_f64 v[48:49], v[16:17], -v[32:33]
	v_add_f64 v[50:51], v[18:19], -v[34:35]
	s_barrier
	ds_write_b128 v40, v[24:27]
	ds_write_b128 v40, v[12:15] offset:272
	v_accvgpr_read_b32 v12, a51
	v_fma_f64 v[16:17], v[16:17], 2.0, -v[48:49]
	v_fma_f64 v[18:19], v[18:19], 2.0, -v[50:51]
	v_add_f64 v[0:1], v[20:21], -v[52:53]
	v_add_f64 v[2:3], v[22:23], -v[54:55]
	ds_write_b128 v12, v[44:47]
	ds_write_b128 v12, v[36:39] offset:272
	v_accvgpr_read_b32 v12, a52
	v_fma_f64 v[20:21], v[20:21], 2.0, -v[0:1]
	v_fma_f64 v[22:23], v[22:23], 2.0, -v[2:3]
	v_add_f64 v[6:7], v[42:43], -v[58:59]
	ds_write_b128 v12, v[16:19]
	ds_write_b128 v12, v[48:51] offset:272
	v_accvgpr_read_b32 v12, a53
	v_fma_f64 v[10:11], v[42:43], 2.0, -v[6:7]
	v_add_f64 v[32:33], v[124:125], -v[62:63]
	v_add_f64 v[34:35], v[126:127], -v[64:65]
	ds_write_b128 v12, v[20:23]
	ds_write_b128 v12, v[0:3] offset:272
	v_accvgpr_read_b32 v12, a54
	v_fma_f64 v[28:29], v[124:125], 2.0, -v[32:33]
	v_fma_f64 v[30:31], v[126:127], 2.0, -v[34:35]
	ds_write_b128 v12, v[8:11]
	ds_write_b128 v12, v[4:7] offset:272
	ds_write_b128 v61, v[28:31]
	ds_write_b128 v61, v[32:35] offset:272
	s_waitcnt lgkmcnt(0)
	s_barrier
	ds_read_b128 v[44:47], v60
	ds_read_b128 v[132:135], v60 offset:3264
	ds_read_b128 v[128:131], v60 offset:6528
	ds_read_b128 v[124:127], v60 offset:9792
	ds_read_b128 v[56:59], v60 offset:13056
	ds_read_b128 v[52:55], v60 offset:16320
	ds_read_b128 v[48:51], v60 offset:19584
	s_and_saveexec_b64 s[0:1], s[2:3]
	s_cbranch_execz .LBB0_19
; %bb.18:
	ds_read_b128 v[0:3], v60 offset:1904
	ds_read_b128 v[8:11], v60 offset:5168
	ds_read_b128 v[4:7], v60 offset:8432
	ds_read_b128 v[28:31], v60 offset:11696
	ds_read_b128 v[32:35], v60 offset:14960
	ds_read_b128 v[180:183], v60 offset:18224
	ds_read_b128 v[184:187], v60 offset:21488
.LBB0_19:
	s_or_b64 exec, exec, s[0:1]
	v_accvgpr_read_b32 v36, a64
	v_accvgpr_read_b32 v38, a66
	;; [unrolled: 1-line block ×5, first 2 shown]
	s_waitcnt lgkmcnt(2)
	v_mul_f64 v[24:25], v[38:39], v[58:59]
	v_mul_f64 v[26:27], v[38:39], v[56:57]
	v_accvgpr_read_b32 v42, a62
	v_accvgpr_read_b32 v43, a63
	v_fmac_f64_e32 v[24:25], v[36:37], v[56:57]
	v_fma_f64 v[26:27], v[36:37], v[58:59], -v[26:27]
	v_accvgpr_read_b32 v41, a61
	s_waitcnt lgkmcnt(1)
	v_mul_f64 v[36:37], v[42:43], v[54:55]
	v_mul_f64 v[38:39], v[42:43], v[52:53]
	v_fmac_f64_e32 v[36:37], v[40:41], v[52:53]
	v_fma_f64 v[38:39], v[40:41], v[54:55], -v[38:39]
	v_accvgpr_read_b32 v52, a56
	v_accvgpr_read_b32 v54, a58
	;; [unrolled: 1-line block ×3, first 2 shown]
	v_mul_f64 v[12:13], v[82:83], v[134:135]
	v_mul_f64 v[16:17], v[78:79], v[130:131]
	v_accvgpr_read_b32 v53, a57
	s_waitcnt lgkmcnt(0)
	v_mul_f64 v[40:41], v[54:55], v[50:51]
	v_fmac_f64_e32 v[12:13], v[80:81], v[132:133]
	v_mul_f64 v[14:15], v[82:83], v[132:133]
	v_fmac_f64_e32 v[16:17], v[76:77], v[128:129]
	v_mul_f64 v[18:19], v[78:79], v[128:129]
	v_mul_f64 v[20:21], v[74:75], v[126:127]
	v_fmac_f64_e32 v[40:41], v[52:53], v[48:49]
	v_mul_f64 v[42:43], v[54:55], v[48:49]
	v_fma_f64 v[14:15], v[80:81], v[134:135], -v[14:15]
	v_fma_f64 v[18:19], v[76:77], v[130:131], -v[18:19]
	v_fmac_f64_e32 v[20:21], v[72:73], v[124:125]
	v_mul_f64 v[22:23], v[74:75], v[124:125]
	v_fma_f64 v[42:43], v[52:53], v[50:51], -v[42:43]
	v_add_f64 v[48:49], v[12:13], v[40:41]
	v_add_f64 v[12:13], v[12:13], -v[40:41]
	v_add_f64 v[40:41], v[16:17], v[36:37]
	v_fma_f64 v[22:23], v[72:73], v[126:127], -v[22:23]
	v_add_f64 v[50:51], v[14:15], v[42:43]
	v_add_f64 v[14:15], v[14:15], -v[42:43]
	v_add_f64 v[42:43], v[18:19], v[38:39]
	v_add_f64 v[16:17], v[16:17], -v[36:37]
	;; [unrolled: 2-line block ×5, first 2 shown]
	v_add_f64 v[26:27], v[42:43], v[50:51]
	v_add_f64 v[56:57], v[20:21], v[16:17]
	;; [unrolled: 1-line block ×3, first 2 shown]
	v_add_f64 v[52:53], v[40:41], -v[48:49]
	v_add_f64 v[48:49], v[48:49], -v[36:37]
	;; [unrolled: 1-line block ×3, first 2 shown]
	v_add_f64 v[58:59], v[22:23], v[18:19]
	v_add_f64 v[62:63], v[20:21], -v[16:17]
	v_add_f64 v[20:21], v[12:13], -v[20:21]
	;; [unrolled: 1-line block ×3, first 2 shown]
	v_add_f64 v[26:27], v[38:39], v[26:27]
	v_add_f64 v[36:37], v[56:57], v[12:13]
	;; [unrolled: 1-line block ×3, first 2 shown]
	s_mov_b32 s16, 0x37e14327
	s_mov_b32 s18, 0x36b3c0b5
	;; [unrolled: 1-line block ×4, first 2 shown]
	v_add_f64 v[54:55], v[42:43], -v[50:51]
	v_add_f64 v[50:51], v[50:51], -v[38:39]
	;; [unrolled: 1-line block ×6, first 2 shown]
	v_add_f64 v[38:39], v[58:59], v[14:15]
	v_add_f64 v[14:15], v[46:47], v[26:27]
	s_mov_b32 s17, 0x3fe948f6
	s_mov_b32 s19, 0x3fac98ee
	;; [unrolled: 1-line block ×5, first 2 shown]
	v_mov_b64_e32 v[66:67], v[12:13]
	s_mov_b32 s6, 0x5476071b
	v_mul_f64 v[44:45], v[48:49], s[16:17]
	v_mul_f64 v[46:47], v[50:51], s[16:17]
	;; [unrolled: 1-line block ×5, first 2 shown]
	s_mov_b32 s1, 0xbfebfeb5
	v_fmac_f64_e32 v[66:67], s[28:29], v[24:25]
	v_mov_b64_e32 v[24:25], v[14:15]
	s_mov_b32 s7, 0x3fe77f67
	s_mov_b32 s23, 0xbfe77f67
	;; [unrolled: 1-line block ×5, first 2 shown]
	v_mul_f64 v[58:59], v[64:65], s[20:21]
	v_mul_f64 v[62:63], v[16:17], s[0:1]
	;; [unrolled: 1-line block ×3, first 2 shown]
	v_fmac_f64_e32 v[24:25], s[28:29], v[26:27]
	v_fma_f64 v[26:27], v[52:53], s[6:7], -v[48:49]
	v_fma_f64 v[48:49], v[54:55], s[6:7], -v[50:51]
	;; [unrolled: 1-line block ×3, first 2 shown]
	v_fmac_f64_e32 v[44:45], s[18:19], v[40:41]
	v_fma_f64 v[40:41], v[54:55], s[22:23], -v[46:47]
	v_fmac_f64_e32 v[46:47], s[18:19], v[42:43]
	s_mov_b32 s31, 0xbfd5d0dc
	v_fma_f64 v[42:43], v[16:17], s[0:1], -v[56:57]
	s_mov_b32 s27, 0x3fd5d0dc
	s_mov_b32 s26, s30
	;; [unrolled: 1-line block ×3, first 2 shown]
	v_fmac_f64_e32 v[56:57], s[30:31], v[20:21]
	v_fma_f64 v[52:53], v[18:19], s[0:1], -v[58:59]
	v_fmac_f64_e32 v[58:59], s[30:31], v[22:23]
	v_fma_f64 v[54:55], v[20:21], s[26:27], -v[62:63]
	v_fma_f64 v[62:63], v[22:23], s[26:27], -v[64:65]
	v_add_f64 v[48:49], v[48:49], v[24:25]
	v_fmac_f64_e32 v[42:43], s[24:25], v[36:37]
	v_add_f64 v[44:45], v[44:45], v[66:67]
	v_add_f64 v[46:47], v[46:47], v[24:25]
	;; [unrolled: 1-line block ×5, first 2 shown]
	v_fmac_f64_e32 v[56:57], s[24:25], v[36:37]
	v_fmac_f64_e32 v[58:59], s[24:25], v[38:39]
	;; [unrolled: 1-line block ×5, first 2 shown]
	v_add_f64 v[26:27], v[42:43], v[48:49]
	v_add_f64 v[38:39], v[48:49], -v[42:43]
	v_accvgpr_read_b32 v48, a55
	v_add_f64 v[16:17], v[58:59], v[44:45]
	v_add_f64 v[18:19], v[46:47], -v[56:57]
	v_add_f64 v[20:21], v[62:63], v[50:51]
	v_add_f64 v[22:23], v[66:67], -v[54:55]
	v_add_f64 v[24:25], v[64:65], -v[52:53]
	v_add_f64 v[36:37], v[52:53], v[64:65]
	v_add_f64 v[40:41], v[50:51], -v[62:63]
	v_add_f64 v[42:43], v[54:55], v[66:67]
	;; [unrolled: 2-line block ×3, first 2 shown]
	s_barrier
	ds_write_b128 v48, v[12:15]
	ds_write_b128 v48, v[16:19] offset:544
	ds_write_b128 v48, v[20:23] offset:1088
	;; [unrolled: 1-line block ×6, first 2 shown]
	s_and_saveexec_b64 s[34:35], s[2:3]
	s_cbranch_execz .LBB0_21
; %bb.20:
	v_accvgpr_read_b32 v65, a17
	v_accvgpr_read_b32 v69, a29
	;; [unrolled: 1-line block ×12, first 2 shown]
	v_mul_f64 v[12:13], v[64:65], v[10:11]
	v_accvgpr_read_b32 v67, a27
	v_accvgpr_read_b32 v66, a26
	v_mul_f64 v[14:15], v[68:69], v[186:187]
	v_accvgpr_read_b32 v54, a8
	v_accvgpr_read_b32 v58, a12
	;; [unrolled: 1-line block ×4, first 2 shown]
	v_mul_f64 v[26:27], v[50:51], v[6:7]
	v_accvgpr_read_b32 v71, a31
	v_accvgpr_read_b32 v70, a30
	v_mul_f64 v[36:37], v[72:73], v[182:183]
	v_fmac_f64_e32 v[12:13], v[62:63], v[8:9]
	v_fmac_f64_e32 v[14:15], v[66:67], v[184:185]
	v_accvgpr_read_b32 v53, a7
	v_accvgpr_read_b32 v52, a6
	v_mul_f64 v[18:19], v[54:55], v[34:35]
	v_accvgpr_read_b32 v57, a11
	v_accvgpr_read_b32 v56, a10
	v_mul_f64 v[20:21], v[58:59], v[30:31]
	v_fmac_f64_e32 v[26:27], v[48:49], v[4:5]
	v_fmac_f64_e32 v[36:37], v[70:71], v[180:181]
	v_add_f64 v[16:17], v[12:13], -v[14:15]
	v_fmac_f64_e32 v[18:19], v[52:53], v[32:33]
	v_fmac_f64_e32 v[20:21], v[56:57], v[28:29]
	v_add_f64 v[12:13], v[12:13], v[14:15]
	v_add_f64 v[14:15], v[26:27], v[36:37]
	v_add_f64 v[22:23], v[18:19], -v[20:21]
	v_add_f64 v[38:39], v[26:27], -v[36:37]
	v_add_f64 v[26:27], v[14:15], v[12:13]
	v_add_f64 v[18:19], v[20:21], v[18:19]
	;; [unrolled: 1-line block ×4, first 2 shown]
	v_mul_f64 v[44:45], v[68:69], v[184:185]
	v_mul_f64 v[8:9], v[64:65], v[8:9]
	;; [unrolled: 1-line block ×5, first 2 shown]
	v_mov_b64_e32 v[26:27], v[0:1]
	v_fma_f64 v[44:45], v[66:67], v[186:187], -v[44:45]
	v_fma_f64 v[8:9], v[62:63], v[10:11], -v[8:9]
	;; [unrolled: 1-line block ×5, first 2 shown]
	v_mul_f64 v[30:31], v[54:55], v[32:33]
	v_fmac_f64_e32 v[26:27], s[28:29], v[20:21]
	v_add_f64 v[20:21], v[12:13], -v[18:19]
	v_add_f64 v[10:11], v[8:9], v[44:45]
	v_add_f64 v[48:49], v[4:5], v[46:47]
	v_fma_f64 v[30:31], v[52:53], v[34:35], -v[30:31]
	v_mul_f64 v[20:21], v[20:21], s[16:17]
	v_add_f64 v[18:19], v[18:19], -v[14:15]
	v_add_f64 v[6:7], v[48:49], v[10:11]
	v_add_f64 v[32:33], v[28:29], v[30:31]
	v_mul_f64 v[36:37], v[18:19], s[18:19]
	v_fma_f64 v[18:19], s[18:19], v[18:19], v[20:21]
	v_add_f64 v[6:7], v[32:33], v[6:7]
	v_add_f64 v[54:55], v[18:19], v[26:27]
	v_add_f64 v[18:19], v[30:31], -v[28:29]
	v_add_f64 v[30:31], v[4:5], -v[46:47]
	v_add_f64 v[2:3], v[2:3], v[6:7]
	v_add_f64 v[8:9], v[8:9], -v[44:45]
	v_add_f64 v[4:5], v[18:19], -v[30:31]
	;; [unrolled: 1-line block ×4, first 2 shown]
	v_add_f64 v[22:23], v[22:23], v[38:39]
	v_mov_b64_e32 v[34:35], v[2:3]
	v_mul_f64 v[44:45], v[4:5], s[20:21]
	v_add_f64 v[4:5], v[18:19], v[30:31]
	v_add_f64 v[30:31], v[30:31], -v[8:9]
	v_add_f64 v[22:23], v[22:23], v[16:17]
	v_fmac_f64_e32 v[34:35], s[28:29], v[6:7]
	v_add_f64 v[6:7], v[10:11], -v[32:33]
	v_add_f64 v[28:29], v[8:9], -v[18:19]
	v_add_f64 v[18:19], v[4:5], v[8:9]
	v_add_f64 v[16:17], v[38:39], -v[16:17]
	v_add_f64 v[12:13], v[14:15], -v[12:13]
	v_mul_f64 v[8:9], v[30:31], s[0:1]
	v_mul_f64 v[40:41], v[40:41], s[20:21]
	;; [unrolled: 1-line block ×3, first 2 shown]
	v_add_f64 v[6:7], v[32:33], -v[48:49]
	v_fma_f64 v[46:47], s[30:31], v[28:29], v[44:45]
	v_mul_f64 v[38:39], v[16:17], s[0:1]
	v_fma_f64 v[14:15], v[12:13], s[22:23], -v[20:21]
	v_fma_f64 v[28:29], v[28:29], s[26:27], -v[8:9]
	v_fma_f64 v[42:43], s[30:31], v[24:25], v[40:41]
	v_mul_f64 v[32:33], v[6:7], s[18:19]
	v_fma_f64 v[24:25], v[24:25], s[26:27], -v[38:39]
	v_add_f64 v[38:39], v[48:49], -v[10:11]
	v_add_f64 v[20:21], v[14:15], v[26:27]
	v_fmac_f64_e32 v[28:29], s[24:25], v[18:19]
	v_fma_f64 v[16:17], v[16:17], s[0:1], -v[40:41]
	v_fma_f64 v[12:13], v[12:13], s[6:7], -v[36:37]
	v_fmac_f64_e32 v[42:43], s[24:25], v[22:23]
	v_fma_f64 v[6:7], s[18:19], v[6:7], v[50:51]
	v_fmac_f64_e32 v[24:25], s[24:25], v[22:23]
	v_fma_f64 v[10:11], v[38:39], s[22:23], -v[50:51]
	v_add_f64 v[8:9], v[20:21], -v[28:29]
	v_fma_f64 v[14:15], v[38:39], s[6:7], -v[32:33]
	v_fmac_f64_e32 v[16:17], s[24:25], v[22:23]
	v_add_f64 v[22:23], v[12:13], v[26:27]
	v_fma_f64 v[26:27], v[30:31], s[0:1], -v[44:45]
	v_add_f64 v[20:21], v[28:29], v[20:21]
	v_mul_u32_u24_e32 v28, 0xee, v219
	v_add_f64 v[52:53], v[6:7], v[34:35]
	v_fmac_f64_e32 v[46:47], s[24:25], v[18:19]
	v_add_f64 v[48:49], v[10:11], v[34:35]
	v_add_f64 v[32:33], v[14:15], v[34:35]
	v_fmac_f64_e32 v[26:27], s[24:25], v[18:19]
	v_add_lshl_u32 v28, v28, v221, 4
	v_add_f64 v[6:7], v[42:43], v[52:53]
	v_add_f64 v[4:5], v[54:55], -v[46:47]
	v_add_f64 v[10:11], v[24:25], v[48:49]
	v_add_f64 v[14:15], v[32:33], -v[16:17]
	v_add_f64 v[12:13], v[26:27], v[22:23]
	v_add_f64 v[18:19], v[16:17], v[32:33]
	v_add_f64 v[16:17], v[22:23], -v[26:27]
	v_add_f64 v[22:23], v[48:49], -v[24:25]
	;; [unrolled: 1-line block ×3, first 2 shown]
	v_add_f64 v[24:25], v[46:47], v[54:55]
	ds_write_b128 v28, v[0:3]
	ds_write_b128 v28, v[24:27] offset:544
	ds_write_b128 v28, v[20:23] offset:1088
	;; [unrolled: 1-line block ×6, first 2 shown]
.LBB0_21:
	s_or_b64 exec, exec, s[34:35]
	s_waitcnt lgkmcnt(0)
	s_barrier
	ds_read_b128 v[4:7], v60
	ds_read_b128 v[0:3], v60 offset:1904
	ds_read_b128 v[8:11], v60 offset:3808
	;; [unrolled: 1-line block ×11, first 2 shown]
	s_waitcnt lgkmcnt(9)
	v_mul_f64 v[48:49], v[98:99], v[10:11]
	v_fmac_f64_e32 v[48:49], v[96:97], v[8:9]
	v_mul_f64 v[8:9], v[98:99], v[8:9]
	v_fma_f64 v[50:51], v[96:97], v[10:11], -v[8:9]
	s_waitcnt lgkmcnt(7)
	v_mul_f64 v[8:9], v[94:95], v[18:19]
	v_fmac_f64_e32 v[8:9], v[92:93], v[16:17]
	v_mul_f64 v[10:11], v[94:95], v[16:17]
	s_waitcnt lgkmcnt(5)
	v_mul_f64 v[16:17], v[90:91], v[26:27]
	v_fma_f64 v[10:11], v[92:93], v[18:19], -v[10:11]
	v_fmac_f64_e32 v[16:17], v[88:89], v[24:25]
	v_mul_f64 v[18:19], v[90:91], v[24:25]
	s_waitcnt lgkmcnt(3)
	v_mul_f64 v[24:25], v[86:87], v[34:35]
	v_fma_f64 v[18:19], v[88:89], v[26:27], -v[18:19]
	;; [unrolled: 5-line block ×3, first 2 shown]
	v_fmac_f64_e32 v[32:33], v[100:101], v[40:41]
	v_mul_f64 v[34:35], v[102:103], v[40:41]
	v_mul_f64 v[40:41], v[118:119], v[14:15]
	v_fmac_f64_e32 v[40:41], v[116:117], v[12:13]
	v_mul_f64 v[12:13], v[118:119], v[12:13]
	v_fma_f64 v[34:35], v[100:101], v[42:43], -v[34:35]
	v_fma_f64 v[42:43], v[116:117], v[14:15], -v[12:13]
	v_mul_f64 v[12:13], v[114:115], v[20:21]
	v_fma_f64 v[54:55], v[112:113], v[22:23], -v[12:13]
	v_mul_f64 v[56:57], v[110:111], v[30:31]
	v_mul_f64 v[12:13], v[110:111], v[28:29]
	v_fmac_f64_e32 v[56:57], v[108:109], v[28:29]
	v_fma_f64 v[28:29], v[108:109], v[30:31], -v[12:13]
	v_mul_f64 v[30:31], v[106:107], v[38:39]
	v_mul_f64 v[12:13], v[106:107], v[36:37]
	v_fmac_f64_e32 v[30:31], v[104:105], v[36:37]
	v_fma_f64 v[36:37], v[104:105], v[38:39], -v[12:13]
	s_waitcnt lgkmcnt(0)
	v_mul_f64 v[38:39], v[122:123], v[46:47]
	v_mul_f64 v[12:13], v[122:123], v[44:45]
	;; [unrolled: 1-line block ×3, first 2 shown]
	v_fmac_f64_e32 v[38:39], v[120:121], v[44:45]
	v_fma_f64 v[44:45], v[120:121], v[46:47], -v[12:13]
	v_add_f64 v[12:13], v[4:5], v[8:9]
	v_fmac_f64_e32 v[52:53], v[112:113], v[20:21]
	v_add_f64 v[20:21], v[12:13], v[24:25]
	v_add_f64 v[12:13], v[8:9], v[24:25]
	s_mov_b32 s2, 0xe8584caa
	v_fmac_f64_e32 v[4:5], -0.5, v[12:13]
	v_add_f64 v[12:13], v[10:11], -v[26:27]
	s_mov_b32 s3, 0xbfebb67a
	s_mov_b32 s1, 0x3febb67a
	;; [unrolled: 1-line block ×3, first 2 shown]
	v_fma_f64 v[22:23], s[2:3], v[12:13], v[4:5]
	v_fmac_f64_e32 v[4:5], s[0:1], v[12:13]
	v_add_f64 v[12:13], v[6:7], v[10:11]
	v_add_f64 v[10:11], v[10:11], v[26:27]
	v_fmac_f64_e32 v[6:7], -0.5, v[10:11]
	v_add_f64 v[8:9], v[8:9], -v[24:25]
	v_add_f64 v[46:47], v[12:13], v[26:27]
	v_fma_f64 v[26:27], s[0:1], v[8:9], v[6:7]
	v_fmac_f64_e32 v[6:7], s[2:3], v[8:9]
	v_add_f64 v[8:9], v[48:49], v[16:17]
	v_add_f64 v[24:25], v[8:9], v[32:33]
	;; [unrolled: 1-line block ×3, first 2 shown]
	v_fmac_f64_e32 v[48:49], -0.5, v[8:9]
	v_add_f64 v[8:9], v[18:19], -v[34:35]
	v_fma_f64 v[14:15], s[2:3], v[8:9], v[48:49]
	v_fmac_f64_e32 v[48:49], s[0:1], v[8:9]
	v_add_f64 v[8:9], v[50:51], v[18:19]
	v_add_f64 v[58:59], v[8:9], v[34:35]
	;; [unrolled: 1-line block ×3, first 2 shown]
	v_fmac_f64_e32 v[50:51], -0.5, v[8:9]
	v_add_f64 v[8:9], v[16:17], -v[32:33]
	v_fma_f64 v[18:19], s[0:1], v[8:9], v[50:51]
	v_mul_f64 v[32:33], v[18:19], s[2:3]
	v_fmac_f64_e32 v[32:33], 0.5, v[14:15]
	v_fmac_f64_e32 v[50:51], s[2:3], v[8:9]
	v_add_f64 v[8:9], v[20:21], v[24:25]
	v_add_f64 v[12:13], v[22:23], v[32:33]
	v_add_f64 v[20:21], v[20:21], -v[24:25]
	v_add_f64 v[24:25], v[22:23], -v[32:33]
	v_add_f64 v[32:33], v[0:1], v[52:53]
	v_add_f64 v[10:11], v[46:47], v[58:59]
	v_add_f64 v[22:23], v[46:47], -v[58:59]
	v_add_f64 v[46:47], v[32:33], v[30:31]
	v_add_f64 v[32:33], v[52:53], v[30:31]
	v_mul_f64 v[34:35], v[50:51], s[2:3]
	v_mul_f64 v[50:51], v[50:51], -0.5
	v_fmac_f64_e32 v[0:1], -0.5, v[32:33]
	v_add_f64 v[32:33], v[54:55], -v[36:37]
	v_fmac_f64_e32 v[34:35], -0.5, v[48:49]
	v_fmac_f64_e32 v[50:51], s[0:1], v[48:49]
	v_fma_f64 v[48:49], s[2:3], v[32:33], v[0:1]
	v_fmac_f64_e32 v[0:1], s[0:1], v[32:33]
	v_add_f64 v[32:33], v[2:3], v[54:55]
	v_mul_f64 v[62:63], v[18:19], 0.5
	v_add_f64 v[18:19], v[6:7], v[50:51]
	v_add_f64 v[6:7], v[6:7], -v[50:51]
	v_add_f64 v[50:51], v[32:33], v[36:37]
	v_add_f64 v[32:33], v[54:55], v[36:37]
	v_fmac_f64_e32 v[2:3], -0.5, v[32:33]
	v_add_f64 v[30:31], v[52:53], -v[30:31]
	v_fma_f64 v[52:53], s[0:1], v[30:31], v[2:3]
	v_fmac_f64_e32 v[2:3], s[2:3], v[30:31]
	v_add_f64 v[30:31], v[40:41], v[56:57]
	v_add_f64 v[54:55], v[30:31], v[38:39]
	;; [unrolled: 1-line block ×3, first 2 shown]
	v_fmac_f64_e32 v[40:41], -0.5, v[30:31]
	v_add_f64 v[30:31], v[28:29], -v[44:45]
	v_add_f64 v[16:17], v[4:5], v[34:35]
	v_add_f64 v[4:5], v[4:5], -v[34:35]
	v_fma_f64 v[34:35], s[2:3], v[30:31], v[40:41]
	v_fmac_f64_e32 v[40:41], s[0:1], v[30:31]
	v_add_f64 v[30:31], v[42:43], v[28:29]
	v_add_f64 v[28:29], v[28:29], v[44:45]
	v_fmac_f64_e32 v[42:43], -0.5, v[28:29]
	v_add_f64 v[28:29], v[56:57], -v[38:39]
	v_fmac_f64_e32 v[62:63], s[0:1], v[14:15]
	v_fma_f64 v[38:39], s[0:1], v[28:29], v[42:43]
	v_fmac_f64_e32 v[42:43], s[2:3], v[28:29]
	v_add_f64 v[14:15], v[26:27], v[62:63]
	v_add_f64 v[26:27], v[26:27], -v[62:63]
	v_add_f64 v[58:59], v[30:31], v[44:45]
	v_mul_f64 v[44:45], v[38:39], s[2:3]
	v_mul_f64 v[56:57], v[42:43], s[2:3]
	v_mul_f64 v[62:63], v[38:39], 0.5
	v_mul_f64 v[64:65], v[42:43], -0.5
	v_fmac_f64_e32 v[44:45], 0.5, v[34:35]
	v_fmac_f64_e32 v[56:57], -0.5, v[40:41]
	v_fmac_f64_e32 v[62:63], s[0:1], v[34:35]
	v_fmac_f64_e32 v[64:65], s[0:1], v[40:41]
	v_add_f64 v[28:29], v[46:47], v[54:55]
	v_add_f64 v[32:33], v[48:49], v[44:45]
	;; [unrolled: 1-line block ×6, first 2 shown]
	v_add_f64 v[40:41], v[46:47], -v[54:55]
	v_add_f64 v[44:45], v[48:49], -v[44:45]
	;; [unrolled: 1-line block ×6, first 2 shown]
	ds_write_b128 v60, v[8:11]
	ds_write_b128 v60, v[12:15] offset:3808
	ds_write_b128 v60, v[16:19] offset:7616
	;; [unrolled: 1-line block ×11, first 2 shown]
	s_waitcnt lgkmcnt(0)
	s_barrier
	s_and_b64 exec, exec, s[4:5]
	s_cbranch_execz .LBB0_23
; %bb.22:
	global_load_dwordx4 v[0:3], v232, s[12:13]
	v_mad_u64_u32 v[14:15], s[0:1], s10, v220, 0
	ds_read_b128 v[4:7], v60
	ds_read_b128 v[8:11], v232 offset:1344
	ds_read_b128 v[18:21], v232 offset:21504
	v_mov_b32_e32 v22, v15
	v_mad_u64_u32 v[16:17], s[2:3], s8, v218, 0
	v_mad_u64_u32 v[22:23], s[2:3], s11, v220, v[22:23]
	v_mov_b32_e32 v12, s14
	v_mov_b32_e32 v13, s15
	;; [unrolled: 1-line block ×4, first 2 shown]
	s_mov_b32 s0, 0x16f26017
	v_mad_u64_u32 v[24:25], s[2:3], s9, v218, v[24:25]
	v_lshl_add_u64 v[12:13], v[14:15], 4, v[12:13]
	s_mov_b32 s1, 0x3f46f260
	v_mov_b32_e32 v17, v24
	v_lshl_add_u64 v[12:13], v[16:17], 4, v[12:13]
	v_mov_b32_e32 v24, 0x540
	s_mul_i32 s2, s9, 0x540
	v_mov_b32_e32 v233, 0
	s_movk_i32 s3, 0x1000
	s_waitcnt vmcnt(0) lgkmcnt(2)
	v_mul_f64 v[14:15], v[6:7], v[2:3]
	v_mul_f64 v[2:3], v[4:5], v[2:3]
	v_fmac_f64_e32 v[14:15], v[4:5], v[0:1]
	v_fma_f64 v[2:3], v[0:1], v[6:7], -v[2:3]
	v_mul_f64 v[0:1], v[14:15], s[0:1]
	v_mul_f64 v[2:3], v[2:3], s[0:1]
	global_store_dwordx4 v[12:13], v[0:3], off
	global_load_dwordx4 v[0:3], v232, s[12:13] offset:1344
	v_mad_u64_u32 v[12:13], s[4:5], s8, v24, v[12:13]
	v_add_u32_e32 v13, s2, v13
	s_waitcnt vmcnt(0) lgkmcnt(1)
	v_mul_f64 v[4:5], v[10:11], v[2:3]
	v_mul_f64 v[2:3], v[8:9], v[2:3]
	v_fmac_f64_e32 v[4:5], v[8:9], v[0:1]
	v_fma_f64 v[2:3], v[0:1], v[10:11], -v[2:3]
	v_mul_f64 v[0:1], v[4:5], s[0:1]
	v_mul_f64 v[2:3], v[2:3], s[0:1]
	global_store_dwordx4 v[12:13], v[0:3], off
	global_load_dwordx4 v[0:3], v232, s[12:13] offset:2688
	ds_read_b128 v[4:7], v232 offset:2688
	ds_read_b128 v[8:11], v232 offset:4032
	v_mad_u64_u32 v[12:13], s[4:5], s8, v24, v[12:13]
	v_add_u32_e32 v13, s2, v13
	s_waitcnt vmcnt(0) lgkmcnt(1)
	v_mul_f64 v[14:15], v[6:7], v[2:3]
	v_mul_f64 v[2:3], v[4:5], v[2:3]
	v_fmac_f64_e32 v[14:15], v[4:5], v[0:1]
	v_fma_f64 v[2:3], v[0:1], v[6:7], -v[2:3]
	v_mul_f64 v[0:1], v[14:15], s[0:1]
	v_mul_f64 v[2:3], v[2:3], s[0:1]
	global_store_dwordx4 v[12:13], v[0:3], off
	global_load_dwordx4 v[0:3], v232, s[12:13] offset:4032
	v_lshl_add_u64 v[14:15], s[12:13], 0, v[232:233]
	v_mad_u64_u32 v[12:13], s[4:5], s8, v24, v[12:13]
	v_add_co_u32_e32 v16, vcc, s3, v14
	v_add_u32_e32 v13, s2, v13
	s_nop 0
	v_addc_co_u32_e32 v17, vcc, 0, v15, vcc
	s_movk_i32 s3, 0x2000
	s_waitcnt vmcnt(0) lgkmcnt(0)
	v_mul_f64 v[4:5], v[10:11], v[2:3]
	v_mul_f64 v[2:3], v[8:9], v[2:3]
	v_fmac_f64_e32 v[4:5], v[8:9], v[0:1]
	v_fma_f64 v[2:3], v[0:1], v[10:11], -v[2:3]
	v_mul_f64 v[0:1], v[4:5], s[0:1]
	v_mul_f64 v[2:3], v[2:3], s[0:1]
	global_store_dwordx4 v[12:13], v[0:3], off
	global_load_dwordx4 v[0:3], v[16:17], off offset:1280
	ds_read_b128 v[4:7], v232 offset:5376
	ds_read_b128 v[8:11], v232 offset:6720
	v_mad_u64_u32 v[12:13], s[4:5], s8, v24, v[12:13]
	v_add_u32_e32 v13, s2, v13
	s_waitcnt vmcnt(0) lgkmcnt(1)
	v_mul_f64 v[22:23], v[6:7], v[2:3]
	v_mul_f64 v[2:3], v[4:5], v[2:3]
	v_fmac_f64_e32 v[22:23], v[4:5], v[0:1]
	v_fma_f64 v[2:3], v[0:1], v[6:7], -v[2:3]
	v_mul_f64 v[0:1], v[22:23], s[0:1]
	v_mul_f64 v[2:3], v[2:3], s[0:1]
	global_store_dwordx4 v[12:13], v[0:3], off
	global_load_dwordx4 v[0:3], v[16:17], off offset:2624
	v_mad_u64_u32 v[12:13], s[4:5], s8, v24, v[12:13]
	v_add_u32_e32 v13, s2, v13
	s_waitcnt vmcnt(0) lgkmcnt(0)
	v_mul_f64 v[4:5], v[10:11], v[2:3]
	v_mul_f64 v[2:3], v[8:9], v[2:3]
	v_fmac_f64_e32 v[4:5], v[8:9], v[0:1]
	v_fma_f64 v[2:3], v[0:1], v[10:11], -v[2:3]
	v_mul_f64 v[0:1], v[4:5], s[0:1]
	v_mul_f64 v[2:3], v[2:3], s[0:1]
	global_store_dwordx4 v[12:13], v[0:3], off
	global_load_dwordx4 v[0:3], v[16:17], off offset:3968
	ds_read_b128 v[4:7], v232 offset:8064
	ds_read_b128 v[8:11], v232 offset:9408
	v_mad_u64_u32 v[12:13], s[4:5], s8, v24, v[12:13]
	v_add_co_u32_e32 v16, vcc, s3, v14
	v_add_u32_e32 v13, s2, v13
	s_nop 0
	v_addc_co_u32_e32 v17, vcc, 0, v15, vcc
	s_movk_i32 s3, 0x3000
	s_waitcnt vmcnt(0) lgkmcnt(1)
	v_mul_f64 v[22:23], v[6:7], v[2:3]
	v_mul_f64 v[2:3], v[4:5], v[2:3]
	v_fmac_f64_e32 v[22:23], v[4:5], v[0:1]
	v_fma_f64 v[2:3], v[0:1], v[6:7], -v[2:3]
	v_mul_f64 v[0:1], v[22:23], s[0:1]
	v_mul_f64 v[2:3], v[2:3], s[0:1]
	global_store_dwordx4 v[12:13], v[0:3], off
	global_load_dwordx4 v[0:3], v[16:17], off offset:1216
	v_mad_u64_u32 v[12:13], s[4:5], s8, v24, v[12:13]
	v_add_u32_e32 v13, s2, v13
	s_waitcnt vmcnt(0) lgkmcnt(0)
	v_mul_f64 v[4:5], v[10:11], v[2:3]
	v_mul_f64 v[2:3], v[8:9], v[2:3]
	v_fmac_f64_e32 v[4:5], v[8:9], v[0:1]
	v_fma_f64 v[2:3], v[0:1], v[10:11], -v[2:3]
	v_mul_f64 v[0:1], v[4:5], s[0:1]
	v_mul_f64 v[2:3], v[2:3], s[0:1]
	global_store_dwordx4 v[12:13], v[0:3], off
	global_load_dwordx4 v[0:3], v[16:17], off offset:2560
	ds_read_b128 v[4:7], v232 offset:10752
	ds_read_b128 v[8:11], v232 offset:12096
	v_mad_u64_u32 v[12:13], s[4:5], s8, v24, v[12:13]
	v_add_u32_e32 v13, s2, v13
	s_waitcnt vmcnt(0) lgkmcnt(1)
	v_mul_f64 v[22:23], v[6:7], v[2:3]
	v_mul_f64 v[2:3], v[4:5], v[2:3]
	v_fmac_f64_e32 v[22:23], v[4:5], v[0:1]
	v_fma_f64 v[2:3], v[0:1], v[6:7], -v[2:3]
	v_mul_f64 v[0:1], v[22:23], s[0:1]
	v_mul_f64 v[2:3], v[2:3], s[0:1]
	global_store_dwordx4 v[12:13], v[0:3], off
	global_load_dwordx4 v[0:3], v[16:17], off offset:3904
	v_mad_u64_u32 v[12:13], s[4:5], s8, v24, v[12:13]
	v_add_co_u32_e32 v16, vcc, s3, v14
	v_add_u32_e32 v13, s2, v13
	s_nop 0
	v_addc_co_u32_e32 v17, vcc, 0, v15, vcc
	s_movk_i32 s3, 0x4000
	s_waitcnt vmcnt(0) lgkmcnt(0)
	v_mul_f64 v[4:5], v[10:11], v[2:3]
	v_mul_f64 v[2:3], v[8:9], v[2:3]
	v_fmac_f64_e32 v[4:5], v[8:9], v[0:1]
	v_fma_f64 v[2:3], v[0:1], v[10:11], -v[2:3]
	v_mul_f64 v[0:1], v[4:5], s[0:1]
	v_mul_f64 v[2:3], v[2:3], s[0:1]
	global_store_dwordx4 v[12:13], v[0:3], off
	global_load_dwordx4 v[0:3], v[16:17], off offset:1152
	ds_read_b128 v[4:7], v232 offset:13440
	ds_read_b128 v[8:11], v232 offset:14784
	v_mad_u64_u32 v[12:13], s[4:5], s8, v24, v[12:13]
	v_add_u32_e32 v13, s2, v13
	s_waitcnt vmcnt(0) lgkmcnt(1)
	v_mul_f64 v[22:23], v[6:7], v[2:3]
	v_mul_f64 v[2:3], v[4:5], v[2:3]
	v_fmac_f64_e32 v[22:23], v[4:5], v[0:1]
	v_fma_f64 v[2:3], v[0:1], v[6:7], -v[2:3]
	v_mul_f64 v[0:1], v[22:23], s[0:1]
	v_mul_f64 v[2:3], v[2:3], s[0:1]
	global_store_dwordx4 v[12:13], v[0:3], off
	global_load_dwordx4 v[0:3], v[16:17], off offset:2496
	v_mad_u64_u32 v[12:13], s[4:5], s8, v24, v[12:13]
	v_add_u32_e32 v13, s2, v13
	s_waitcnt vmcnt(0) lgkmcnt(0)
	v_mul_f64 v[4:5], v[10:11], v[2:3]
	v_mul_f64 v[2:3], v[8:9], v[2:3]
	v_fmac_f64_e32 v[4:5], v[8:9], v[0:1]
	v_fma_f64 v[2:3], v[0:1], v[10:11], -v[2:3]
	v_mul_f64 v[0:1], v[4:5], s[0:1]
	v_mul_f64 v[2:3], v[2:3], s[0:1]
	global_store_dwordx4 v[12:13], v[0:3], off
	global_load_dwordx4 v[0:3], v[16:17], off offset:3840
	ds_read_b128 v[4:7], v232 offset:16128
	ds_read_b128 v[8:11], v232 offset:17472
	v_mad_u64_u32 v[12:13], s[4:5], s8, v24, v[12:13]
	v_add_co_u32_e32 v16, vcc, s3, v14
	v_add_u32_e32 v13, s2, v13
	s_nop 0
	v_addc_co_u32_e32 v17, vcc, 0, v15, vcc
	s_movk_i32 s3, 0x5000
	s_waitcnt vmcnt(0) lgkmcnt(1)
	v_mul_f64 v[22:23], v[6:7], v[2:3]
	v_mul_f64 v[2:3], v[4:5], v[2:3]
	v_fmac_f64_e32 v[22:23], v[4:5], v[0:1]
	v_fma_f64 v[2:3], v[0:1], v[6:7], -v[2:3]
	v_mul_f64 v[0:1], v[22:23], s[0:1]
	v_mul_f64 v[2:3], v[2:3], s[0:1]
	global_store_dwordx4 v[12:13], v[0:3], off
	global_load_dwordx4 v[0:3], v[16:17], off offset:1088
	v_mad_u64_u32 v[12:13], s[4:5], s8, v24, v[12:13]
	v_add_u32_e32 v13, s2, v13
	s_waitcnt vmcnt(0) lgkmcnt(0)
	v_mul_f64 v[4:5], v[10:11], v[2:3]
	v_mul_f64 v[2:3], v[8:9], v[2:3]
	v_fmac_f64_e32 v[4:5], v[8:9], v[0:1]
	v_fma_f64 v[2:3], v[0:1], v[10:11], -v[2:3]
	v_mul_f64 v[0:1], v[4:5], s[0:1]
	v_mul_f64 v[2:3], v[2:3], s[0:1]
	global_store_dwordx4 v[12:13], v[0:3], off
	global_load_dwordx4 v[0:3], v[16:17], off offset:2432
	ds_read_b128 v[4:7], v232 offset:18816
	ds_read_b128 v[8:11], v232 offset:20160
	v_mad_u64_u32 v[12:13], s[4:5], s8, v24, v[12:13]
	v_add_u32_e32 v13, s2, v13
	s_waitcnt vmcnt(0) lgkmcnt(1)
	v_mul_f64 v[22:23], v[6:7], v[2:3]
	v_mul_f64 v[2:3], v[4:5], v[2:3]
	v_fmac_f64_e32 v[22:23], v[4:5], v[0:1]
	v_fma_f64 v[2:3], v[0:1], v[6:7], -v[2:3]
	v_mul_f64 v[0:1], v[22:23], s[0:1]
	v_mul_f64 v[2:3], v[2:3], s[0:1]
	global_store_dwordx4 v[12:13], v[0:3], off
	global_load_dwordx4 v[0:3], v[16:17], off offset:3776
	v_mad_u64_u32 v[6:7], s[4:5], s8, v24, v[12:13]
	v_add_co_u32_e32 v4, vcc, s3, v14
	v_add_u32_e32 v7, s2, v7
	s_nop 0
	v_addc_co_u32_e32 v5, vcc, 0, v15, vcc
	s_waitcnt vmcnt(0) lgkmcnt(0)
	v_mul_f64 v[12:13], v[10:11], v[2:3]
	v_mul_f64 v[2:3], v[8:9], v[2:3]
	v_fmac_f64_e32 v[12:13], v[8:9], v[0:1]
	v_fma_f64 v[2:3], v[0:1], v[10:11], -v[2:3]
	v_mul_f64 v[0:1], v[12:13], s[0:1]
	v_mul_f64 v[2:3], v[2:3], s[0:1]
	global_store_dwordx4 v[6:7], v[0:3], off
	global_load_dwordx4 v[0:3], v[4:5], off offset:1024
	v_mad_u64_u32 v[4:5], s[4:5], s8, v24, v[6:7]
	v_add_u32_e32 v5, s2, v5
	s_waitcnt vmcnt(0)
	v_mul_f64 v[6:7], v[20:21], v[2:3]
	v_mul_f64 v[2:3], v[18:19], v[2:3]
	v_fmac_f64_e32 v[6:7], v[18:19], v[0:1]
	v_fma_f64 v[2:3], v[0:1], v[20:21], -v[2:3]
	v_mul_f64 v[0:1], v[6:7], s[0:1]
	v_mul_f64 v[2:3], v[2:3], s[0:1]
	global_store_dwordx4 v[4:5], v[0:3], off
.LBB0_23:
	s_endpgm
	.section	.rodata,"a",@progbits
	.p2align	6, 0x0
	.amdhsa_kernel bluestein_single_back_len1428_dim1_dp_op_CI_CI
		.amdhsa_group_segment_fixed_size 22848
		.amdhsa_private_segment_fixed_size 0
		.amdhsa_kernarg_size 104
		.amdhsa_user_sgpr_count 2
		.amdhsa_user_sgpr_dispatch_ptr 0
		.amdhsa_user_sgpr_queue_ptr 0
		.amdhsa_user_sgpr_kernarg_segment_ptr 1
		.amdhsa_user_sgpr_dispatch_id 0
		.amdhsa_user_sgpr_kernarg_preload_length 0
		.amdhsa_user_sgpr_kernarg_preload_offset 0
		.amdhsa_user_sgpr_private_segment_size 0
		.amdhsa_uses_dynamic_stack 0
		.amdhsa_enable_private_segment 0
		.amdhsa_system_sgpr_workgroup_id_x 1
		.amdhsa_system_sgpr_workgroup_id_y 0
		.amdhsa_system_sgpr_workgroup_id_z 0
		.amdhsa_system_sgpr_workgroup_info 0
		.amdhsa_system_vgpr_workitem_id 0
		.amdhsa_next_free_vgpr 398
		.amdhsa_next_free_sgpr 62
		.amdhsa_accum_offset 256
		.amdhsa_reserve_vcc 1
		.amdhsa_float_round_mode_32 0
		.amdhsa_float_round_mode_16_64 0
		.amdhsa_float_denorm_mode_32 3
		.amdhsa_float_denorm_mode_16_64 3
		.amdhsa_dx10_clamp 1
		.amdhsa_ieee_mode 1
		.amdhsa_fp16_overflow 0
		.amdhsa_tg_split 0
		.amdhsa_exception_fp_ieee_invalid_op 0
		.amdhsa_exception_fp_denorm_src 0
		.amdhsa_exception_fp_ieee_div_zero 0
		.amdhsa_exception_fp_ieee_overflow 0
		.amdhsa_exception_fp_ieee_underflow 0
		.amdhsa_exception_fp_ieee_inexact 0
		.amdhsa_exception_int_div_zero 0
	.end_amdhsa_kernel
	.text
.Lfunc_end0:
	.size	bluestein_single_back_len1428_dim1_dp_op_CI_CI, .Lfunc_end0-bluestein_single_back_len1428_dim1_dp_op_CI_CI
                                        ; -- End function
	.section	.AMDGPU.csdata,"",@progbits
; Kernel info:
; codeLenInByte = 29564
; NumSgprs: 68
; NumVgprs: 256
; NumAgprs: 142
; TotalNumVgprs: 398
; ScratchSize: 0
; MemoryBound: 0
; FloatMode: 240
; IeeeMode: 1
; LDSByteSize: 22848 bytes/workgroup (compile time only)
; SGPRBlocks: 8
; VGPRBlocks: 49
; NumSGPRsForWavesPerEU: 68
; NumVGPRsForWavesPerEU: 398
; AccumOffset: 256
; Occupancy: 1
; WaveLimiterHint : 1
; COMPUTE_PGM_RSRC2:SCRATCH_EN: 0
; COMPUTE_PGM_RSRC2:USER_SGPR: 2
; COMPUTE_PGM_RSRC2:TRAP_HANDLER: 0
; COMPUTE_PGM_RSRC2:TGID_X_EN: 1
; COMPUTE_PGM_RSRC2:TGID_Y_EN: 0
; COMPUTE_PGM_RSRC2:TGID_Z_EN: 0
; COMPUTE_PGM_RSRC2:TIDIG_COMP_CNT: 0
; COMPUTE_PGM_RSRC3_GFX90A:ACCUM_OFFSET: 63
; COMPUTE_PGM_RSRC3_GFX90A:TG_SPLIT: 0
	.text
	.p2alignl 6, 3212836864
	.fill 256, 4, 3212836864
	.type	__hip_cuid_8dc3aac212147c58,@object ; @__hip_cuid_8dc3aac212147c58
	.section	.bss,"aw",@nobits
	.globl	__hip_cuid_8dc3aac212147c58
__hip_cuid_8dc3aac212147c58:
	.byte	0                               ; 0x0
	.size	__hip_cuid_8dc3aac212147c58, 1

	.ident	"AMD clang version 19.0.0git (https://github.com/RadeonOpenCompute/llvm-project roc-6.4.0 25133 c7fe45cf4b819c5991fe208aaa96edf142730f1d)"
	.section	".note.GNU-stack","",@progbits
	.addrsig
	.addrsig_sym __hip_cuid_8dc3aac212147c58
	.amdgpu_metadata
---
amdhsa.kernels:
  - .agpr_count:     142
    .args:
      - .actual_access:  read_only
        .address_space:  global
        .offset:         0
        .size:           8
        .value_kind:     global_buffer
      - .actual_access:  read_only
        .address_space:  global
        .offset:         8
        .size:           8
        .value_kind:     global_buffer
      - .actual_access:  read_only
        .address_space:  global
        .offset:         16
        .size:           8
        .value_kind:     global_buffer
      - .actual_access:  read_only
        .address_space:  global
        .offset:         24
        .size:           8
        .value_kind:     global_buffer
      - .actual_access:  read_only
        .address_space:  global
        .offset:         32
        .size:           8
        .value_kind:     global_buffer
      - .offset:         40
        .size:           8
        .value_kind:     by_value
      - .address_space:  global
        .offset:         48
        .size:           8
        .value_kind:     global_buffer
      - .address_space:  global
        .offset:         56
        .size:           8
        .value_kind:     global_buffer
      - .address_space:  global
        .offset:         64
        .size:           8
        .value_kind:     global_buffer
      - .address_space:  global
        .offset:         72
        .size:           8
        .value_kind:     global_buffer
      - .offset:         80
        .size:           4
        .value_kind:     by_value
      - .address_space:  global
        .offset:         88
        .size:           8
        .value_kind:     global_buffer
      - .address_space:  global
        .offset:         96
        .size:           8
        .value_kind:     global_buffer
    .group_segment_fixed_size: 22848
    .kernarg_segment_align: 8
    .kernarg_segment_size: 104
    .language:       OpenCL C
    .language_version:
      - 2
      - 0
    .max_flat_workgroup_size: 119
    .name:           bluestein_single_back_len1428_dim1_dp_op_CI_CI
    .private_segment_fixed_size: 0
    .sgpr_count:     68
    .sgpr_spill_count: 0
    .symbol:         bluestein_single_back_len1428_dim1_dp_op_CI_CI.kd
    .uniform_work_group_size: 1
    .uses_dynamic_stack: false
    .vgpr_count:     398
    .vgpr_spill_count: 2
    .wavefront_size: 64
amdhsa.target:   amdgcn-amd-amdhsa--gfx950
amdhsa.version:
  - 1
  - 2
...

	.end_amdgpu_metadata
